;; amdgpu-corpus repo=ROCm/rocFFT kind=compiled arch=gfx1201 opt=O3
	.text
	.amdgcn_target "amdgcn-amd-amdhsa--gfx1201"
	.amdhsa_code_object_version 6
	.protected	fft_rtc_back_len1326_factors_17_6_13_wgs_204_tpt_102_halfLds_dp_ip_CI_unitstride_sbrr_dirReg ; -- Begin function fft_rtc_back_len1326_factors_17_6_13_wgs_204_tpt_102_halfLds_dp_ip_CI_unitstride_sbrr_dirReg
	.globl	fft_rtc_back_len1326_factors_17_6_13_wgs_204_tpt_102_halfLds_dp_ip_CI_unitstride_sbrr_dirReg
	.p2align	8
	.type	fft_rtc_back_len1326_factors_17_6_13_wgs_204_tpt_102_halfLds_dp_ip_CI_unitstride_sbrr_dirReg,@function
fft_rtc_back_len1326_factors_17_6_13_wgs_204_tpt_102_halfLds_dp_ip_CI_unitstride_sbrr_dirReg: ; @fft_rtc_back_len1326_factors_17_6_13_wgs_204_tpt_102_halfLds_dp_ip_CI_unitstride_sbrr_dirReg
; %bb.0:
	s_clause 0x2
	s_load_b128 s[4:7], s[0:1], 0x0
	s_load_b64 s[8:9], s[0:1], 0x50
	s_load_b64 s[10:11], s[0:1], 0x18
	v_mul_u32_u24_e32 v1, 0x283, v0
	v_mov_b32_e32 v3, 0
	s_delay_alu instid0(VALU_DEP_2) | instskip(SKIP_2) | instid1(VALU_DEP_4)
	v_lshrrev_b32_e32 v194, 16, v1
	v_mov_b32_e32 v1, 0
	v_mov_b32_e32 v2, 0
	;; [unrolled: 1-line block ×3, first 2 shown]
	s_delay_alu instid0(VALU_DEP_4) | instskip(SKIP_2) | instid1(VALU_DEP_1)
	v_lshl_add_u32 v5, ttmp9, 1, v194
	s_wait_kmcnt 0x0
	v_cmp_lt_u64_e64 s2, s[6:7], 2
	s_and_b32 vcc_lo, exec_lo, s2
	s_cbranch_vccnz .LBB0_8
; %bb.1:
	s_load_b64 s[2:3], s[0:1], 0x10
	v_mov_b32_e32 v1, 0
	v_mov_b32_e32 v2, 0
	s_add_nc_u64 s[12:13], s[10:11], 8
	s_mov_b64 s[14:15], 1
	s_wait_kmcnt 0x0
	s_add_nc_u64 s[16:17], s[2:3], 8
	s_mov_b32 s3, 0
.LBB0_2:                                ; =>This Inner Loop Header: Depth=1
	s_load_b64 s[18:19], s[16:17], 0x0
                                        ; implicit-def: $vgpr7_vgpr8
	s_mov_b32 s2, exec_lo
	s_wait_kmcnt 0x0
	v_or_b32_e32 v4, s19, v6
	s_delay_alu instid0(VALU_DEP_1)
	v_cmpx_ne_u64_e32 0, v[3:4]
	s_wait_alu 0xfffe
	s_xor_b32 s20, exec_lo, s2
	s_cbranch_execz .LBB0_4
; %bb.3:                                ;   in Loop: Header=BB0_2 Depth=1
	s_cvt_f32_u32 s2, s18
	s_cvt_f32_u32 s21, s19
	s_sub_nc_u64 s[24:25], 0, s[18:19]
	s_wait_alu 0xfffe
	s_delay_alu instid0(SALU_CYCLE_1) | instskip(SKIP_1) | instid1(SALU_CYCLE_2)
	s_fmamk_f32 s2, s21, 0x4f800000, s2
	s_wait_alu 0xfffe
	v_s_rcp_f32 s2, s2
	s_delay_alu instid0(TRANS32_DEP_1) | instskip(SKIP_1) | instid1(SALU_CYCLE_2)
	s_mul_f32 s2, s2, 0x5f7ffffc
	s_wait_alu 0xfffe
	s_mul_f32 s21, s2, 0x2f800000
	s_wait_alu 0xfffe
	s_delay_alu instid0(SALU_CYCLE_2) | instskip(SKIP_1) | instid1(SALU_CYCLE_2)
	s_trunc_f32 s21, s21
	s_wait_alu 0xfffe
	s_fmamk_f32 s2, s21, 0xcf800000, s2
	s_cvt_u32_f32 s23, s21
	s_wait_alu 0xfffe
	s_delay_alu instid0(SALU_CYCLE_1) | instskip(SKIP_1) | instid1(SALU_CYCLE_2)
	s_cvt_u32_f32 s22, s2
	s_wait_alu 0xfffe
	s_mul_u64 s[26:27], s[24:25], s[22:23]
	s_wait_alu 0xfffe
	s_mul_hi_u32 s29, s22, s27
	s_mul_i32 s28, s22, s27
	s_mul_hi_u32 s2, s22, s26
	s_mul_i32 s30, s23, s26
	s_wait_alu 0xfffe
	s_add_nc_u64 s[28:29], s[2:3], s[28:29]
	s_mul_hi_u32 s21, s23, s26
	s_mul_hi_u32 s31, s23, s27
	s_add_co_u32 s2, s28, s30
	s_wait_alu 0xfffe
	s_add_co_ci_u32 s2, s29, s21
	s_mul_i32 s26, s23, s27
	s_add_co_ci_u32 s27, s31, 0
	s_wait_alu 0xfffe
	s_add_nc_u64 s[26:27], s[2:3], s[26:27]
	s_wait_alu 0xfffe
	v_add_co_u32 v4, s2, s22, s26
	s_delay_alu instid0(VALU_DEP_1) | instskip(SKIP_1) | instid1(VALU_DEP_1)
	s_cmp_lg_u32 s2, 0
	s_add_co_ci_u32 s23, s23, s27
	v_readfirstlane_b32 s22, v4
	s_wait_alu 0xfffe
	s_delay_alu instid0(VALU_DEP_1)
	s_mul_u64 s[24:25], s[24:25], s[22:23]
	s_wait_alu 0xfffe
	s_mul_hi_u32 s27, s22, s25
	s_mul_i32 s26, s22, s25
	s_mul_hi_u32 s2, s22, s24
	s_mul_i32 s28, s23, s24
	s_wait_alu 0xfffe
	s_add_nc_u64 s[26:27], s[2:3], s[26:27]
	s_mul_hi_u32 s21, s23, s24
	s_mul_hi_u32 s22, s23, s25
	s_wait_alu 0xfffe
	s_add_co_u32 s2, s26, s28
	s_add_co_ci_u32 s2, s27, s21
	s_mul_i32 s24, s23, s25
	s_add_co_ci_u32 s25, s22, 0
	s_wait_alu 0xfffe
	s_add_nc_u64 s[24:25], s[2:3], s[24:25]
	s_wait_alu 0xfffe
	v_add_co_u32 v4, s2, v4, s24
	s_delay_alu instid0(VALU_DEP_1) | instskip(SKIP_1) | instid1(VALU_DEP_1)
	s_cmp_lg_u32 s2, 0
	s_add_co_ci_u32 s2, s23, s25
	v_mul_hi_u32 v13, v5, v4
	s_wait_alu 0xfffe
	v_mad_co_u64_u32 v[7:8], null, v5, s2, 0
	v_mad_co_u64_u32 v[9:10], null, v6, v4, 0
	;; [unrolled: 1-line block ×3, first 2 shown]
	s_delay_alu instid0(VALU_DEP_3) | instskip(SKIP_1) | instid1(VALU_DEP_4)
	v_add_co_u32 v4, vcc_lo, v13, v7
	s_wait_alu 0xfffd
	v_add_co_ci_u32_e32 v7, vcc_lo, 0, v8, vcc_lo
	s_delay_alu instid0(VALU_DEP_2) | instskip(SKIP_1) | instid1(VALU_DEP_2)
	v_add_co_u32 v4, vcc_lo, v4, v9
	s_wait_alu 0xfffd
	v_add_co_ci_u32_e32 v4, vcc_lo, v7, v10, vcc_lo
	s_wait_alu 0xfffd
	v_add_co_ci_u32_e32 v7, vcc_lo, 0, v12, vcc_lo
	s_delay_alu instid0(VALU_DEP_2) | instskip(SKIP_1) | instid1(VALU_DEP_2)
	v_add_co_u32 v4, vcc_lo, v4, v11
	s_wait_alu 0xfffd
	v_add_co_ci_u32_e32 v9, vcc_lo, 0, v7, vcc_lo
	s_delay_alu instid0(VALU_DEP_2) | instskip(SKIP_1) | instid1(VALU_DEP_3)
	v_mul_lo_u32 v10, s19, v4
	v_mad_co_u64_u32 v[7:8], null, s18, v4, 0
	v_mul_lo_u32 v11, s18, v9
	s_delay_alu instid0(VALU_DEP_2) | instskip(NEXT) | instid1(VALU_DEP_2)
	v_sub_co_u32 v7, vcc_lo, v5, v7
	v_add3_u32 v8, v8, v11, v10
	s_delay_alu instid0(VALU_DEP_1) | instskip(SKIP_1) | instid1(VALU_DEP_1)
	v_sub_nc_u32_e32 v10, v6, v8
	s_wait_alu 0xfffd
	v_subrev_co_ci_u32_e64 v10, s2, s19, v10, vcc_lo
	v_add_co_u32 v11, s2, v4, 2
	s_wait_alu 0xf1ff
	v_add_co_ci_u32_e64 v12, s2, 0, v9, s2
	v_sub_co_u32 v13, s2, v7, s18
	v_sub_co_ci_u32_e32 v8, vcc_lo, v6, v8, vcc_lo
	s_wait_alu 0xf1ff
	v_subrev_co_ci_u32_e64 v10, s2, 0, v10, s2
	s_delay_alu instid0(VALU_DEP_3) | instskip(NEXT) | instid1(VALU_DEP_3)
	v_cmp_le_u32_e32 vcc_lo, s18, v13
	v_cmp_eq_u32_e64 s2, s19, v8
	s_wait_alu 0xfffd
	v_cndmask_b32_e64 v13, 0, -1, vcc_lo
	v_cmp_le_u32_e32 vcc_lo, s19, v10
	s_wait_alu 0xfffd
	v_cndmask_b32_e64 v14, 0, -1, vcc_lo
	v_cmp_le_u32_e32 vcc_lo, s18, v7
	;; [unrolled: 3-line block ×3, first 2 shown]
	s_wait_alu 0xfffd
	v_cndmask_b32_e64 v15, 0, -1, vcc_lo
	v_cmp_eq_u32_e32 vcc_lo, s19, v10
	s_wait_alu 0xf1ff
	s_delay_alu instid0(VALU_DEP_2)
	v_cndmask_b32_e64 v7, v15, v7, s2
	s_wait_alu 0xfffd
	v_cndmask_b32_e32 v10, v14, v13, vcc_lo
	v_add_co_u32 v13, vcc_lo, v4, 1
	s_wait_alu 0xfffd
	v_add_co_ci_u32_e32 v14, vcc_lo, 0, v9, vcc_lo
	s_delay_alu instid0(VALU_DEP_3) | instskip(SKIP_2) | instid1(VALU_DEP_3)
	v_cmp_ne_u32_e32 vcc_lo, 0, v10
	s_wait_alu 0xfffd
	v_cndmask_b32_e32 v10, v13, v11, vcc_lo
	v_cndmask_b32_e32 v8, v14, v12, vcc_lo
	v_cmp_ne_u32_e32 vcc_lo, 0, v7
	s_wait_alu 0xfffd
	s_delay_alu instid0(VALU_DEP_2)
	v_dual_cndmask_b32 v7, v4, v10 :: v_dual_cndmask_b32 v8, v9, v8
.LBB0_4:                                ;   in Loop: Header=BB0_2 Depth=1
	s_wait_alu 0xfffe
	s_and_not1_saveexec_b32 s2, s20
	s_cbranch_execz .LBB0_6
; %bb.5:                                ;   in Loop: Header=BB0_2 Depth=1
	v_cvt_f32_u32_e32 v4, s18
	s_sub_co_i32 s20, 0, s18
	s_delay_alu instid0(VALU_DEP_1) | instskip(NEXT) | instid1(TRANS32_DEP_1)
	v_rcp_iflag_f32_e32 v4, v4
	v_mul_f32_e32 v4, 0x4f7ffffe, v4
	s_delay_alu instid0(VALU_DEP_1) | instskip(SKIP_1) | instid1(VALU_DEP_1)
	v_cvt_u32_f32_e32 v4, v4
	s_wait_alu 0xfffe
	v_mul_lo_u32 v7, s20, v4
	s_delay_alu instid0(VALU_DEP_1) | instskip(NEXT) | instid1(VALU_DEP_1)
	v_mul_hi_u32 v7, v4, v7
	v_add_nc_u32_e32 v4, v4, v7
	s_delay_alu instid0(VALU_DEP_1) | instskip(NEXT) | instid1(VALU_DEP_1)
	v_mul_hi_u32 v4, v5, v4
	v_mul_lo_u32 v7, v4, s18
	v_add_nc_u32_e32 v8, 1, v4
	s_delay_alu instid0(VALU_DEP_2) | instskip(NEXT) | instid1(VALU_DEP_1)
	v_sub_nc_u32_e32 v7, v5, v7
	v_subrev_nc_u32_e32 v9, s18, v7
	v_cmp_le_u32_e32 vcc_lo, s18, v7
	s_wait_alu 0xfffd
	s_delay_alu instid0(VALU_DEP_2) | instskip(NEXT) | instid1(VALU_DEP_1)
	v_dual_cndmask_b32 v7, v7, v9 :: v_dual_cndmask_b32 v4, v4, v8
	v_cmp_le_u32_e32 vcc_lo, s18, v7
	s_delay_alu instid0(VALU_DEP_2) | instskip(SKIP_1) | instid1(VALU_DEP_1)
	v_add_nc_u32_e32 v8, 1, v4
	s_wait_alu 0xfffd
	v_dual_cndmask_b32 v7, v4, v8 :: v_dual_mov_b32 v8, v3
.LBB0_6:                                ;   in Loop: Header=BB0_2 Depth=1
	s_wait_alu 0xfffe
	s_or_b32 exec_lo, exec_lo, s2
	s_load_b64 s[20:21], s[12:13], 0x0
	s_delay_alu instid0(VALU_DEP_1)
	v_mul_lo_u32 v4, v8, s18
	v_mul_lo_u32 v11, v7, s19
	v_mad_co_u64_u32 v[9:10], null, v7, s18, 0
	s_add_nc_u64 s[14:15], s[14:15], 1
	s_add_nc_u64 s[12:13], s[12:13], 8
	s_wait_alu 0xfffe
	v_cmp_ge_u64_e64 s2, s[14:15], s[6:7]
	s_add_nc_u64 s[16:17], s[16:17], 8
	s_delay_alu instid0(VALU_DEP_2) | instskip(NEXT) | instid1(VALU_DEP_3)
	v_add3_u32 v4, v10, v11, v4
	v_sub_co_u32 v5, vcc_lo, v5, v9
	s_wait_alu 0xfffd
	s_delay_alu instid0(VALU_DEP_2) | instskip(SKIP_3) | instid1(VALU_DEP_2)
	v_sub_co_ci_u32_e32 v4, vcc_lo, v6, v4, vcc_lo
	s_and_b32 vcc_lo, exec_lo, s2
	s_wait_kmcnt 0x0
	v_mul_lo_u32 v6, s21, v5
	v_mul_lo_u32 v4, s20, v4
	v_mad_co_u64_u32 v[1:2], null, s20, v5, v[1:2]
	s_delay_alu instid0(VALU_DEP_1)
	v_add3_u32 v2, v6, v2, v4
	s_wait_alu 0xfffe
	s_cbranch_vccnz .LBB0_9
; %bb.7:                                ;   in Loop: Header=BB0_2 Depth=1
	v_dual_mov_b32 v5, v7 :: v_dual_mov_b32 v6, v8
	s_branch .LBB0_2
.LBB0_8:
	v_dual_mov_b32 v8, v6 :: v_dual_mov_b32 v7, v5
.LBB0_9:
	s_lshl_b64 s[2:3], s[6:7], 3
	v_mul_hi_u32 v3, 0x2828283, v0
	s_wait_alu 0xfffe
	s_add_nc_u64 s[2:3], s[10:11], s[2:3]
	v_mov_b32_e32 v110, 0
	s_load_b64 s[2:3], s[2:3], 0x0
	s_load_b64 s[0:1], s[0:1], 0x20
                                        ; implicit-def: $vgpr10_vgpr11
                                        ; implicit-def: $vgpr14_vgpr15
                                        ; implicit-def: $vgpr22_vgpr23
                                        ; implicit-def: $vgpr30_vgpr31
                                        ; implicit-def: $vgpr42_vgpr43
                                        ; implicit-def: $vgpr46_vgpr47
                                        ; implicit-def: $vgpr50_vgpr51
                                        ; implicit-def: $vgpr66_vgpr67
                                        ; implicit-def: $vgpr78_vgpr79
                                        ; implicit-def: $vgpr74_vgpr75
                                        ; implicit-def: $vgpr70_vgpr71
                                        ; implicit-def: $vgpr62_vgpr63
                                        ; implicit-def: $vgpr58_vgpr59
                                        ; implicit-def: $vgpr54_vgpr55
                                        ; implicit-def: $vgpr26_vgpr27
	s_wait_kmcnt 0x0
	v_mul_lo_u32 v4, s2, v8
	v_mul_lo_u32 v5, s3, v7
	v_mad_co_u64_u32 v[108:109], null, s2, v7, v[1:2]
	v_mul_u32_u24_e32 v1, 0x66, v3
	v_cmp_gt_u64_e32 vcc_lo, s[0:1], v[7:8]
                                        ; implicit-def: $vgpr2_vgpr3
                                        ; implicit-def: $vgpr6_vgpr7
	s_delay_alu instid0(VALU_DEP_2) | instskip(NEXT) | instid1(VALU_DEP_4)
	v_sub_nc_u32_e32 v111, v0, v1
	v_add3_u32 v109, v5, v109, v4
	s_and_saveexec_b32 s1, vcc_lo
	s_cbranch_execz .LBB0_13
; %bb.10:
	s_mov_b32 s2, exec_lo
                                        ; implicit-def: $vgpr24_vgpr25
                                        ; implicit-def: $vgpr52_vgpr53
                                        ; implicit-def: $vgpr56_vgpr57
                                        ; implicit-def: $vgpr60_vgpr61
                                        ; implicit-def: $vgpr68_vgpr69
                                        ; implicit-def: $vgpr72_vgpr73
                                        ; implicit-def: $vgpr76_vgpr77
                                        ; implicit-def: $vgpr64_vgpr65
                                        ; implicit-def: $vgpr48_vgpr49
                                        ; implicit-def: $vgpr44_vgpr45
                                        ; implicit-def: $vgpr40_vgpr41
                                        ; implicit-def: $vgpr28_vgpr29
                                        ; implicit-def: $vgpr20_vgpr21
                                        ; implicit-def: $vgpr12_vgpr13
                                        ; implicit-def: $vgpr8_vgpr9
                                        ; implicit-def: $vgpr4_vgpr5
                                        ; implicit-def: $vgpr0_vgpr1
	v_cmpx_gt_u32_e32 0x4e, v111
; %bb.11:
	v_mov_b32_e32 v112, 0
	v_lshlrev_b64_e32 v[0:1], 4, v[108:109]
	s_delay_alu instid0(VALU_DEP_2) | instskip(NEXT) | instid1(VALU_DEP_2)
	v_lshlrev_b64_e32 v[2:3], 4, v[111:112]
	v_add_co_u32 v0, s0, s8, v0
	s_wait_alu 0xf1ff
	s_delay_alu instid0(VALU_DEP_3) | instskip(NEXT) | instid1(VALU_DEP_2)
	v_add_co_ci_u32_e64 v1, s0, s9, v1, s0
	v_add_co_u32 v0, s0, v0, v2
	s_wait_alu 0xf1ff
	s_delay_alu instid0(VALU_DEP_2)
	v_add_co_ci_u32_e64 v1, s0, v1, v3, s0
	s_clause 0x10
	global_load_b128 v[24:27], v[0:1], off
	global_load_b128 v[52:55], v[0:1], off offset:1248
	global_load_b128 v[56:59], v[0:1], off offset:2496
	;; [unrolled: 1-line block ×16, first 2 shown]
; %bb.12:
	s_wait_alu 0xfffe
	s_or_b32 exec_lo, exec_lo, s2
	v_mov_b32_e32 v110, v111
.LBB0_13:
	s_wait_alu 0xfffe
	s_or_b32 exec_lo, exec_lo, s1
	s_wait_loadcnt 0x0
	v_add_f64_e64 v[38:39], v[54:55], -v[2:3]
	s_mov_b32 s2, 0x2a9d6da3
	s_mov_b32 s6, 0xeb564b22
	;; [unrolled: 1-line block ×10, first 2 shown]
	v_add_f64_e32 v[80:81], v[0:1], v[52:53]
	v_add_f64_e64 v[82:83], v[58:59], -v[6:7]
	s_mov_b32 s22, 0x75d4884
	s_mov_b32 s24, 0x3259b75e
	;; [unrolled: 1-line block ×16, first 2 shown]
	v_add_f64_e32 v[192:193], v[4:5], v[56:57]
	v_add_f64_e64 v[152:153], v[62:63], -v[10:11]
	s_mov_b32 s34, 0x6ed5f1bb
	s_mov_b32 s38, 0x7faef3
	;; [unrolled: 1-line block ×7, first 2 shown]
	s_wait_alu 0xfffe
	v_mul_f64_e32 v[84:85], s[2:3], v[38:39]
	v_mul_f64_e32 v[86:87], s[10:11], v[38:39]
	;; [unrolled: 1-line block ×5, first 2 shown]
	s_mov_b32 s41, 0xbfeb34fa
	s_mov_b32 s37, 0x3fe58eea
	;; [unrolled: 1-line block ×5, first 2 shown]
	v_add_f64_e32 v[190:191], v[8:9], v[60:61]
	v_add_f64_e64 v[126:127], v[70:71], -v[14:15]
	v_mul_f64_e32 v[170:171], s[6:7], v[82:83]
	v_mul_f64_e32 v[176:177], s[42:43], v[82:83]
	;; [unrolled: 1-line block ×5, first 2 shown]
	s_mov_b32 s51, 0x3fd71e95
	s_mov_b32 s50, s14
	v_add_f64_e32 v[184:185], v[12:13], v[68:69]
	v_add_f64_e64 v[98:99], v[74:75], -v[22:23]
	v_add_f64_e32 v[174:175], v[20:21], v[72:73]
	s_mov_b32 s55, 0xbfe0d888
	s_mov_b32 s45, 0x3fefdd0d
	;; [unrolled: 1-line block ×4, first 2 shown]
	v_add_f64_e32 v[162:163], v[28:29], v[76:77]
	s_mov_b32 s47, 0x3feca52d
	s_mov_b32 s53, 0x3fe9895b
	;; [unrolled: 1-line block ×3, first 2 shown]
	v_mul_f64_e32 v[164:165], s[42:43], v[152:153]
	v_mul_f64_e32 v[166:167], s[30:31], v[152:153]
	s_wait_alu 0xfffe
	v_mul_f64_e32 v[172:173], s[18:19], v[152:153]
	v_mul_f64_e32 v[180:181], s[36:37], v[152:153]
	v_mul_f64_e32 v[168:169], s[10:11], v[152:153]
	s_mov_b32 s52, s42
	v_add_f64_e32 v[148:149], v[40:41], v[64:65]
	v_and_b32_e32 v194, 1, v194
	v_fma_f64 v[16:17], v[80:81], s[22:23], -v[84:85]
	v_fma_f64 v[18:19], v[80:81], s[20:21], -v[86:87]
	;; [unrolled: 1-line block ×5, first 2 shown]
	v_cmp_eq_u32_e64 s0, 1, v194
	v_cmp_gt_u32_e64 s1, 0x4e, v111
	s_wait_alu 0xf1ff
	s_delay_alu instid0(VALU_DEP_2)
	v_cndmask_b32_e64 v194, 0, 0x52e, s0
	v_mul_f64_e32 v[150:151], s[16:17], v[126:127]
	v_fma_f64 v[88:89], v[192:193], s[24:25], -v[170:171]
	v_fma_f64 v[90:91], v[192:193], s[34:35], -v[176:177]
	;; [unrolled: 1-line block ×5, first 2 shown]
	v_mul_f64_e32 v[154:155], s[18:19], v[126:127]
	v_mul_f64_e32 v[156:157], s[50:51], v[126:127]
	;; [unrolled: 1-line block ×9, first 2 shown]
	v_fma_f64 v[100:101], v[190:191], s[34:35], -v[164:165]
	v_fma_f64 v[102:103], v[190:191], s[38:39], -v[166:167]
	;; [unrolled: 1-line block ×5, first 2 shown]
	v_add_f64_e32 v[16:17], v[24:25], v[16:17]
	v_add_f64_e32 v[18:19], v[24:25], v[18:19]
	;; [unrolled: 1-line block ×5, first 2 shown]
	v_fma_f64 v[114:115], v[184:185], s[20:21], -v[160:161]
	v_fma_f64 v[116:117], v[184:185], s[24:25], -v[158:159]
	;; [unrolled: 1-line block ×4, first 2 shown]
	v_add_f64_e32 v[16:17], v[88:89], v[16:17]
	v_add_f64_e32 v[18:19], v[90:91], v[18:19]
	;; [unrolled: 1-line block ×5, first 2 shown]
	v_add_f64_e64 v[92:93], v[78:79], -v[30:31]
	v_fma_f64 v[90:91], v[184:185], s[38:39], -v[150:151]
	v_fma_f64 v[94:95], v[184:185], s[26:27], -v[154:155]
	;; [unrolled: 1-line block ×3, first 2 shown]
	v_add_f64_e64 v[88:89], v[66:67], -v[42:43]
	v_add_f64_e32 v[16:17], v[100:101], v[16:17]
	v_add_f64_e32 v[18:19], v[102:103], v[18:19]
	;; [unrolled: 1-line block ×5, first 2 shown]
	v_mul_f64_e32 v[120:121], s[18:19], v[92:93]
	v_mul_f64_e32 v[122:123], s[14:15], v[92:93]
	;; [unrolled: 1-line block ×5, first 2 shown]
	v_fma_f64 v[100:101], v[174:175], s[40:41], -v[132:133]
	v_fma_f64 v[104:105], v[174:175], s[22:23], -v[134:135]
	;; [unrolled: 1-line block ×3, first 2 shown]
	v_mul_f64_e32 v[102:103], s[46:47], v[88:89]
	v_mul_f64_e32 v[106:107], s[6:7], v[88:89]
	;; [unrolled: 1-line block ×3, first 2 shown]
	v_add_f64_e32 v[16:17], v[90:91], v[16:17]
	v_add_f64_e32 v[18:19], v[94:95], v[18:19]
	;; [unrolled: 1-line block ×5, first 2 shown]
	v_add_f64_e64 v[90:91], v[50:51], -v[46:47]
	v_mul_f64_e32 v[114:115], s[52:53], v[88:89]
	v_mul_f64_e32 v[116:117], s[54:55], v[88:89]
	v_fma_f64 v[197:198], v[162:163], s[26:27], -v[120:121]
	v_fma_f64 v[199:200], v[162:163], s[28:29], -v[122:123]
	;; [unrolled: 1-line block ×7, first 2 shown]
	v_add_f64_e32 v[16:17], v[100:101], v[16:17]
	v_add_f64_e32 v[18:19], v[104:105], v[18:19]
	v_add_f64_e32 v[32:33], v[112:113], v[32:33]
	v_add_f64_e32 v[34:35], v[144:145], v[34:35]
	v_add_f64_e32 v[36:37], v[195:196], v[36:37]
	v_add_f64_e32 v[144:145], v[44:45], v[48:49]
	v_mul_f64_e32 v[94:95], s[50:51], v[90:91]
	v_mul_f64_e32 v[96:97], s[54:55], v[90:91]
	;; [unrolled: 1-line block ×5, first 2 shown]
	v_fma_f64 v[195:196], v[148:149], s[20:21], -v[102:103]
	v_fma_f64 v[209:210], v[148:149], s[34:35], -v[114:115]
	;; [unrolled: 1-line block ×3, first 2 shown]
	v_add_f64_e32 v[16:17], v[197:198], v[16:17]
	v_add_f64_e32 v[18:19], v[199:200], v[18:19]
	;; [unrolled: 1-line block ×5, first 2 shown]
	v_fma_f64 v[197:198], v[144:145], s[28:29], -v[94:95]
	v_fma_f64 v[199:200], v[144:145], s[40:41], -v[96:97]
	;; [unrolled: 1-line block ×5, first 2 shown]
	v_add_f64_e32 v[16:17], v[195:196], v[16:17]
	v_add_f64_e32 v[18:19], v[207:208], v[18:19]
	;; [unrolled: 1-line block ×10, first 2 shown]
	v_lshlrev_b32_e32 v196, 3, v194
	s_and_saveexec_b32 s0, s1
	s_cbranch_execz .LBB0_15
; %bb.14:
	v_add_f64_e32 v[194:195], v[52:53], v[24:25]
	v_mul_f64_e32 v[203:204], s[26:27], v[80:81]
	v_mul_f64_e32 v[205:206], s[24:25], v[80:81]
	;; [unrolled: 1-line block ×16, first 2 shown]
	v_add_f64_e32 v[194:195], v[56:57], v[194:195]
	v_add_f64_e32 v[146:147], v[146:147], v[203:204]
	;; [unrolled: 1-line block ×3, first 2 shown]
	v_fma_f64 v[225:226], v[38:39], s[30:31], v[197:198]
	v_fma_f64 v[197:198], v[38:39], s[16:17], v[197:198]
	;; [unrolled: 1-line block ×6, first 2 shown]
	v_add_f64_e32 v[86:87], v[86:87], v[207:208]
	v_add_f64_e32 v[188:189], v[188:189], v[209:210]
	;; [unrolled: 1-line block ×3, first 2 shown]
	v_mul_f64_e32 v[205:206], s[22:23], v[190:191]
	v_mul_f64_e32 v[207:208], s[26:27], v[190:191]
	v_fma_f64 v[209:210], v[82:83], s[14:15], v[211:212]
	v_fma_f64 v[211:212], v[82:83], s[50:51], v[211:212]
	;; [unrolled: 1-line block ×6, first 2 shown]
	v_mul_f64_e32 v[215:216], s[38:39], v[190:191]
	v_add_f64_e32 v[186:187], v[186:187], v[217:218]
	v_add_f64_e32 v[178:179], v[178:179], v[219:220]
	v_mul_f64_e32 v[84:85], s[40:41], v[190:191]
	v_mul_f64_e32 v[201:202], s[24:25], v[190:191]
	;; [unrolled: 1-line block ×5, first 2 shown]
	v_add_f64_e32 v[182:183], v[182:183], v[192:193]
	v_add_f64_e32 v[176:177], v[176:177], v[221:222]
	;; [unrolled: 1-line block ×17, first 2 shown]
	v_mul_f64_e32 v[207:208], s[20:21], v[184:185]
	v_mul_f64_e32 v[80:81], s[22:23], v[184:185]
	;; [unrolled: 1-line block ×3, first 2 shown]
	v_add_f64_e32 v[166:167], v[166:167], v[215:216]
	v_mul_f64_e32 v[215:216], s[28:29], v[184:185]
	v_fma_f64 v[223:224], v[152:153], s[48:49], v[84:85]
	v_fma_f64 v[84:85], v[152:153], s[54:55], v[84:85]
	;; [unrolled: 1-line block ×6, first 2 shown]
	v_mul_f64_e32 v[203:204], s[34:35], v[184:185]
	v_add_f64_e32 v[164:165], v[164:165], v[217:218]
	v_mul_f64_e32 v[217:218], s[26:27], v[184:185]
	v_add_f64_e32 v[168:169], v[168:169], v[190:191]
	v_mul_f64_e32 v[190:191], s[38:39], v[184:185]
	v_mul_f64_e32 v[184:185], s[24:25], v[184:185]
	v_add_f64_e32 v[194:195], v[68:69], v[194:195]
	v_add_f64_e32 v[146:147], v[186:187], v[146:147]
	;; [unrolled: 1-line block ×12, first 2 shown]
	v_mul_f64_e32 v[186:187], s[38:39], v[174:175]
	v_mul_f64_e32 v[188:189], s[20:21], v[174:175]
	v_add_f64_e32 v[160:161], v[160:161], v[207:208]
	v_mul_f64_e32 v[170:171], s[34:35], v[174:175]
	v_mul_f64_e32 v[178:179], s[28:29], v[174:175]
	;; [unrolled: 1-line block ×4, first 2 shown]
	v_fma_f64 v[219:220], v[126:127], s[2:3], v[80:81]
	v_fma_f64 v[80:81], v[126:127], s[36:37], v[80:81]
	v_add_f64_e32 v[156:157], v[156:157], v[215:216]
	v_fma_f64 v[229:230], v[126:127], s[48:49], v[205:206]
	v_fma_f64 v[221:222], v[126:127], s[42:43], v[203:204]
	;; [unrolled: 1-line block ×4, first 2 shown]
	v_add_f64_e32 v[154:155], v[154:155], v[217:218]
	v_add_f64_e32 v[150:151], v[150:151], v[190:191]
	;; [unrolled: 1-line block ×15, first 2 shown]
	v_mul_f64_e32 v[180:181], s[24:25], v[162:163]
	v_mul_f64_e32 v[199:200], s[40:41], v[162:163]
	v_add_f64_e32 v[140:141], v[140:141], v[186:187]
	v_add_f64_e32 v[136:137], v[136:137], v[188:189]
	v_mul_f64_e32 v[164:165], s[34:35], v[162:163]
	v_mul_f64_e32 v[166:167], s[26:27], v[162:163]
	;; [unrolled: 1-line block ×4, first 2 shown]
	v_fma_f64 v[201:202], v[98:99], s[52:53], v[170:171]
	v_fma_f64 v[170:171], v[98:99], s[42:43], v[170:171]
	v_fma_f64 v[205:206], v[98:99], s[50:51], v[178:179]
	v_fma_f64 v[178:179], v[98:99], s[14:15], v[178:179]
	v_fma_f64 v[207:208], v[98:99], s[6:7], v[182:183]
	v_fma_f64 v[98:99], v[98:99], s[44:45], v[182:183]
	v_add_f64_e32 v[132:133], v[132:133], v[213:214]
	v_mul_f64_e32 v[186:187], s[22:23], v[148:149]
	v_add_f64_e32 v[194:195], v[76:77], v[194:195]
	v_add_f64_e32 v[146:147], v[160:161], v[146:147]
	v_add_f64_e32 v[142:143], v[156:157], v[142:143]
	v_mul_f64_e32 v[156:157], s[34:35], v[148:149]
	v_add_f64_e32 v[80:81], v[80:81], v[84:85]
	v_add_f64_e32 v[84:85], v[221:222], v[190:191]
	v_add_f64_e32 v[182:183], v[203:204], v[192:193]
	v_mul_f64_e32 v[160:161], s[26:27], v[148:149]
	v_add_f64_e32 v[38:39], v[126:127], v[38:39]
	v_add_f64_e32 v[82:83], v[154:155], v[82:83]
	v_add_f64_e32 v[86:87], v[158:159], v[86:87]
	v_add_f64_e32 v[24:25], v[150:151], v[24:25]
	v_mul_f64_e32 v[158:159], s[28:29], v[148:149]
	v_add_f64_e32 v[130:131], v[130:131], v[180:181]
	v_add_f64_e32 v[124:125], v[124:125], v[199:200]
	v_mul_f64_e32 v[150:151], s[40:41], v[148:149]
	v_mul_f64_e32 v[154:155], s[24:25], v[148:149]
	v_add_f64_e32 v[128:129], v[128:129], v[164:165]
	v_fma_f64 v[188:189], v[92:93], s[10:11], v[168:169]
	v_fma_f64 v[168:169], v[92:93], s[46:47], v[168:169]
	;; [unrolled: 1-line block ×4, first 2 shown]
	v_add_f64_e32 v[120:121], v[120:121], v[166:167]
	v_add_f64_e32 v[194:195], v[64:65], v[194:195]
	;; [unrolled: 1-line block ×4, first 2 shown]
	v_mul_f64_e32 v[142:143], s[34:35], v[144:145]
	v_add_f64_e32 v[80:81], v[170:171], v[80:81]
	v_add_f64_e32 v[84:85], v[205:206], v[84:85]
	v_add_f64_e32 v[164:165], v[178:179], v[182:183]
	v_add_f64_e32 v[114:115], v[114:115], v[156:157]
	v_add_f64_e32 v[38:39], v[98:99], v[38:39]
	v_mul_f64_e32 v[146:147], s[24:25], v[144:145]
	v_mul_f64_e32 v[170:171], s[26:27], v[144:145]
	v_add_f64_e32 v[24:25], v[132:133], v[24:25]
	v_add_f64_e32 v[118:119], v[118:119], v[158:159]
	v_mul_f64_e32 v[132:133], s[28:29], v[144:145]
	v_fma_f64 v[178:179], v[88:89], s[36:37], v[186:187]
	v_add_f64_e32 v[116:117], v[116:117], v[150:151]
	v_add_f64_e32 v[106:107], v[106:107], v[154:155]
	;; [unrolled: 1-line block ×10, first 2 shown]
	v_fma_f64 v[120:121], v[90:91], s[44:45], v[146:147]
	v_add_f64_e32 v[94:95], v[94:95], v[132:133]
	v_add_f64_e32 v[194:195], v[44:45], v[194:195]
	v_add_f64_e32 v[118:119], v[118:119], v[130:131]
	v_add_f64_e32 v[114:115], v[114:115], v[124:125]
	v_add_f64_e32 v[132:133], v[178:179], v[150:151]
	s_delay_alu instid0(VALU_DEP_4) | instskip(SKIP_3) | instid1(VALU_DEP_4)
	v_add_f64_e32 v[176:177], v[40:41], v[194:195]
	v_mul_f64_e32 v[194:195], s[22:23], v[174:175]
	v_mul_f64_e32 v[174:175], s[26:27], v[174:175]
	v_add_f64_e32 v[104:105], v[104:105], v[118:119]
	v_add_f64_e32 v[152:153], v[28:29], v[176:177]
	v_mul_f64_e32 v[176:177], s[22:23], v[162:163]
	v_mul_f64_e32 v[162:163], s[28:29], v[162:163]
	v_add_f64_e32 v[138:139], v[138:139], v[174:175]
	v_add_f64_e32 v[174:175], v[219:220], v[184:185]
	v_add_f64_e32 v[184:185], v[229:230], v[197:198]
	v_add_f64_e32 v[134:135], v[134:135], v[194:195]
	v_add_f64_e32 v[126:127], v[20:21], v[152:153]
	v_mul_f64_e32 v[152:153], s[20:21], v[148:149]
	v_mul_f64_e32 v[148:149], s[38:39], v[148:149]
	v_fma_f64 v[192:193], v[92:93], s[36:37], v[176:177]
	v_fma_f64 v[92:93], v[92:93], s[2:3], v[176:177]
	v_add_f64_e32 v[122:123], v[122:123], v[162:163]
	v_add_f64_e32 v[162:163], v[201:202], v[174:175]
	;; [unrolled: 1-line block ×5, first 2 shown]
	v_mul_f64_e32 v[138:139], s[22:23], v[144:145]
	v_mul_f64_e32 v[134:135], s[40:41], v[144:145]
	v_fma_f64 v[174:175], v[88:89], s[18:19], v[160:161]
	v_fma_f64 v[160:161], v[88:89], s[12:13], v[160:161]
	;; [unrolled: 1-line block ×3, first 2 shown]
	v_add_f64_e32 v[98:99], v[12:13], v[126:127]
	v_mul_f64_e32 v[126:127], s[38:39], v[144:145]
	v_mul_f64_e32 v[144:145], s[20:21], v[144:145]
	v_fma_f64 v[180:181], v[88:89], s[30:31], v[148:149]
	v_fma_f64 v[88:89], v[88:89], s[16:17], v[148:149]
	v_add_f64_e32 v[38:39], v[92:93], v[38:39]
	v_add_f64_e32 v[148:149], v[188:189], v[162:163]
	;; [unrolled: 1-line block ×7, first 2 shown]
	v_fma_f64 v[122:123], v[90:91], s[18:19], v[170:171]
	v_fma_f64 v[128:129], v[90:91], s[12:13], v[170:171]
	v_add_f64_e32 v[80:81], v[160:161], v[80:81]
	v_add_f64_e32 v[96:97], v[96:97], v[134:135]
	;; [unrolled: 1-line block ×4, first 2 shown]
	v_fma_f64 v[98:99], v[90:91], s[6:7], v[146:147]
	v_fma_f64 v[136:137], v[90:91], s[10:11], v[144:145]
	;; [unrolled: 1-line block ×3, first 2 shown]
	v_add_f64_e32 v[112:113], v[112:113], v[126:127]
	v_add_f64_e32 v[38:39], v[88:89], v[38:39]
	;; [unrolled: 1-line block ×18, first 2 shown]
	v_mul_u32_u24_e32 v90, 0x88, v111
	s_delay_alu instid0(VALU_DEP_1)
	v_add3_u32 v90, 0, v90, v196
	v_add_f64_e32 v[88:89], v[0:1], v[88:89]
	ds_store_2addr_b64 v90, v[16:17], v[18:19] offset0:12 offset1:13
	ds_store_2addr_b64 v90, v[32:33], v[34:35] offset0:14 offset1:15
	;; [unrolled: 1-line block ×6, first 2 shown]
	ds_store_2addr_b64 v90, v[88:89], v[86:87] offset1:1
	ds_store_2addr_b64 v90, v[24:25], v[82:83] offset0:2 offset1:3
	ds_store_b64 v90, v[36:37] offset:128
.LBB0_15:
	s_wait_alu 0xfffe
	s_or_b32 exec_lo, exec_lo, s0
	v_lshlrev_b32_e32 v24, 3, v111
	global_wb scope:SCOPE_SE
	s_wait_dscnt 0x0
	s_barrier_signal -1
	s_barrier_wait -1
	global_inv scope:SCOPE_SE
	v_add_nc_u32_e32 v199, 0, v24
	v_add3_u32 v197, 0, v196, v24
	v_cmp_gt_u32_e64 s0, 17, v111
	s_delay_alu instid0(VALU_DEP_3) | instskip(NEXT) | instid1(VALU_DEP_1)
	v_add_nc_u32_e32 v198, v199, v196
	v_add_nc_u32_e32 v25, 0x800, v198
	;; [unrolled: 1-line block ×5, first 2 shown]
	ds_load_2addr_b64 v[80:83], v198 offset0:102 offset1:221
	ds_load_2addr_b64 v[84:87], v25 offset0:67 offset1:186
	;; [unrolled: 1-line block ×5, first 2 shown]
	ds_load_b64 v[112:113], v197
	ds_load_b64 v[114:115], v198 offset:9656
	s_and_saveexec_b32 s2, s0
	s_cbranch_execz .LBB0_17
; %bb.16:
	v_add_nc_u32_e32 v16, 0x600, v198
	v_add_nc_u32_e32 v25, 0x2200, v198
	ds_load_2addr_b64 v[32:35], v24 offset0:6 offset1:227
	ds_load_2addr_b64 v[16:19], v16 offset0:12 offset1:233
	ds_load_2addr_b64 v[36:39], v25 offset1:221
.LBB0_17:
	s_wait_alu 0xfffe
	s_or_b32 exec_lo, exec_lo, s2
	v_add_f64_e64 v[132:133], v[52:53], -v[0:1]
	s_mov_b32 s26, 0x5d8e7cdc
	s_mov_b32 s22, 0x2a9d6da3
	;; [unrolled: 1-line block ×10, first 2 shown]
	v_add_f64_e32 v[24:25], v[2:3], v[54:55]
	v_add_f64_e64 v[162:163], v[56:57], -v[4:5]
	s_mov_b32 s18, 0x370991
	s_mov_b32 s14, 0x75d4884
	;; [unrolled: 1-line block ×16, first 2 shown]
	v_add_f64_e32 v[118:119], v[6:7], v[58:59]
	v_add_f64_e64 v[184:185], v[60:61], -v[8:9]
	s_mov_b32 s24, 0x6ed5f1bb
	s_mov_b32 s20, 0x7faef3
	;; [unrolled: 1-line block ×7, first 2 shown]
	s_wait_alu 0xfffe
	v_mul_f64_e32 v[164:165], s[26:27], v[132:133]
	v_mul_f64_e32 v[166:167], s[22:23], v[132:133]
	;; [unrolled: 1-line block ×5, first 2 shown]
	s_mov_b32 s45, 0x3feec746
	s_mov_b32 s35, 0x3fe58eea
	;; [unrolled: 1-line block ×5, first 2 shown]
	v_add_f64_e32 v[134:135], v[10:11], v[62:63]
	v_add_f64_e64 v[172:173], v[68:69], -v[12:13]
	v_mul_f64_e32 v[186:187], s[22:23], v[162:163]
	v_mul_f64_e32 v[188:189], s[40:41], v[162:163]
	;; [unrolled: 1-line block ×5, first 2 shown]
	s_mov_b32 s47, 0x3fd71e95
	s_mov_b32 s46, s26
	v_add_f64_e32 v[128:129], v[14:15], v[70:71]
	v_add_f64_e64 v[150:151], v[72:73], -v[20:21]
	v_add_f64_e32 v[116:117], v[22:23], v[74:75]
	v_add_f64_e64 v[146:147], v[76:77], -v[28:29]
	v_add_f64_e64 v[76:77], v[64:65], -v[40:41]
	s_mov_b32 s49, 0x3fe9895b
	s_mov_b32 s48, s36
	global_wb scope:SCOPE_SE
	s_wait_dscnt 0x0
	s_barrier_signal -1
	s_barrier_wait -1
	global_inv scope:SCOPE_SE
	v_mul_f64_e32 v[174:175], s[12:13], v[184:185]
	v_mul_f64_e32 v[176:177], s[36:37], v[184:185]
	s_wait_alu 0xfffe
	v_mul_f64_e32 v[178:179], s[38:39], v[184:185]
	v_mul_f64_e32 v[180:181], s[44:45], v[184:185]
	;; [unrolled: 1-line block ×3, first 2 shown]
	s_mov_b32 s39, 0x3fefdd0d
	s_mov_b32 s38, s40
	v_fma_f64 v[0:1], v[24:25], s[18:19], v[164:165]
	v_fma_f64 v[4:5], v[24:25], s[14:15], v[166:167]
	;; [unrolled: 1-line block ×5, first 2 shown]
	v_mul_f64_e32 v[152:153], s[40:41], v[172:173]
	v_fma_f64 v[12:13], v[118:119], s[14:15], v[186:187]
	v_fma_f64 v[60:61], v[118:119], s[2:3], v[188:189]
	;; [unrolled: 1-line block ×5, first 2 shown]
	v_mul_f64_e32 v[154:155], s[30:31], v[172:173]
	v_mul_f64_e32 v[156:157], s[44:45], v[172:173]
	;; [unrolled: 1-line block ×9, first 2 shown]
	s_mov_b32 s43, 0xbfe0d888
	v_mul_f64_e32 v[122:123], s[44:45], v[146:147]
	v_mul_f64_e32 v[124:125], s[26:27], v[146:147]
	s_wait_alu 0xfffe
	v_mul_f64_e32 v[126:127], s[38:39], v[146:147]
	v_fma_f64 v[20:21], v[134:135], s[6:7], v[174:175]
	v_fma_f64 v[72:73], v[134:135], s[24:25], v[176:177]
	;; [unrolled: 1-line block ×5, first 2 shown]
	v_mul_f64_e32 v[130:131], s[42:43], v[146:147]
	s_mov_b32 s13, 0x3feca52d
	v_mul_f64_e32 v[40:41], s[40:41], v[76:77]
	v_add_f64_e32 v[0:1], v[26:27], v[0:1]
	v_add_f64_e32 v[4:5], v[26:27], v[4:5]
	;; [unrolled: 1-line block ×5, first 2 shown]
	v_mul_f64_e32 v[64:65], s[42:43], v[76:77]
	v_fma_f64 v[28:29], v[128:129], s[2:3], v[152:153]
	v_fma_f64 v[200:201], v[116:117], s[20:21], v[144:145]
	v_add_f64_e32 v[0:1], v[12:13], v[0:1]
	v_add_f64_e32 v[4:5], v[60:61], v[4:5]
	;; [unrolled: 1-line block ×5, first 2 shown]
	v_fma_f64 v[56:57], v[128:129], s[20:21], v[154:155]
	v_fma_f64 v[60:61], v[128:129], s[10:11], v[156:157]
	;; [unrolled: 1-line block ×5, first 2 shown]
	v_add_f64_e32 v[0:1], v[20:21], v[0:1]
	v_add_f64_e32 v[4:5], v[72:73], v[4:5]
	;; [unrolled: 1-line block ×6, first 2 shown]
	v_mul_f64_e32 v[120:121], s[36:37], v[146:147]
	v_fma_f64 v[72:73], v[116:117], s[10:11], v[136:137]
	v_fma_f64 v[104:105], v[116:117], s[14:15], v[140:141]
	;; [unrolled: 1-line block ×3, first 2 shown]
	v_add_f64_e32 v[0:1], v[28:29], v[0:1]
	v_add_f64_e32 v[28:29], v[56:57], v[4:5]
	;; [unrolled: 1-line block ×6, first 2 shown]
	v_add_f64_e64 v[52:53], v[48:49], -v[44:45]
	v_mul_f64_e32 v[44:45], s[48:49], v[76:77]
	v_mul_f64_e32 v[48:49], s[26:27], v[76:77]
	s_wait_alu 0xfffe
	v_mul_f64_e32 v[68:69], s[12:13], v[76:77]
	v_fma_f64 v[100:101], v[20:21], s[24:25], v[120:121]
	v_fma_f64 v[202:203], v[20:21], s[10:11], v[122:123]
	;; [unrolled: 1-line block ×5, first 2 shown]
	v_add_f64_e32 v[0:1], v[72:73], v[0:1]
	v_add_f64_e32 v[102:103], v[102:103], v[28:29]
	;; [unrolled: 1-line block ×6, first 2 shown]
	v_mul_f64_e32 v[12:13], s[30:31], v[52:53]
	v_mul_f64_e32 v[28:29], s[46:47], v[52:53]
	;; [unrolled: 1-line block ×5, first 2 shown]
	v_fma_f64 v[210:211], v[4:5], s[2:3], v[40:41]
	v_fma_f64 v[212:213], v[4:5], s[24:25], v[44:45]
	;; [unrolled: 1-line block ×5, first 2 shown]
	v_add_f64_e32 v[0:1], v[100:101], v[0:1]
	v_add_f64_e32 v[100:101], v[202:203], v[102:103]
	v_add_f64_e32 v[102:103], v[204:205], v[104:105]
	v_add_f64_e32 v[104:105], v[208:209], v[106:107]
	v_add_f64_e32 v[106:107], v[206:207], v[200:201]
	v_fma_f64 v[200:201], v[8:9], s[20:21], v[12:13]
	v_fma_f64 v[202:203], v[8:9], s[18:19], v[28:29]
	;; [unrolled: 1-line block ×5, first 2 shown]
	v_add_f64_e32 v[0:1], v[216:217], v[0:1]
	v_add_f64_e32 v[100:101], v[218:219], v[100:101]
	;; [unrolled: 1-line block ×10, first 2 shown]
	s_and_saveexec_b32 s33, s1
	s_cbranch_execz .LBB0_19
; %bb.18:
	v_add_f64_e32 v[54:55], v[54:55], v[26:27]
	v_mul_f64_e32 v[200:201], s[42:43], v[132:133]
	v_mul_f64_e32 v[202:203], s[14:15], v[118:119]
	;; [unrolled: 1-line block ×16, first 2 shown]
	v_add_f64_e32 v[54:55], v[58:59], v[54:55]
	v_mul_f64_e32 v[58:59], s[18:19], v[24:25]
	v_add_f64_e64 v[186:187], v[202:203], -v[186:187]
	v_add_f64_e64 v[188:189], v[204:205], -v[188:189]
	;; [unrolled: 1-line block ×5, first 2 shown]
	v_fma_f64 v[202:203], v[118:119], s[10:11], -v[212:213]
	v_fma_f64 v[204:205], v[118:119], s[10:11], v[212:213]
	v_fma_f64 v[206:207], v[118:119], s[6:7], -v[214:215]
	v_fma_f64 v[208:209], v[118:119], s[6:7], v[214:215]
	;; [unrolled: 2-line block ×3, first 2 shown]
	v_mul_f64_e32 v[212:213], s[18:19], v[128:129]
	v_mul_f64_e32 v[214:215], s[6:7], v[128:129]
	v_add_f64_e32 v[54:55], v[62:63], v[54:55]
	v_mul_f64_e32 v[62:63], s[14:15], v[24:25]
	v_add_f64_e64 v[58:59], v[58:59], -v[164:165]
	s_delay_alu instid0(VALU_DEP_3) | instskip(SKIP_1) | instid1(VALU_DEP_4)
	v_add_f64_e32 v[54:55], v[70:71], v[54:55]
	v_mul_f64_e32 v[70:71], s[2:3], v[24:25]
	v_add_f64_e64 v[62:63], v[62:63], -v[166:167]
	v_fma_f64 v[166:167], v[24:25], s[28:29], -v[200:201]
	v_add_f64_e32 v[58:59], v[26:27], v[58:59]
	v_add_f64_e32 v[54:55], v[74:75], v[54:55]
	v_mul_f64_e32 v[74:75], s[10:11], v[24:25]
	v_add_f64_e64 v[70:71], v[70:71], -v[168:169]
	v_add_f64_e32 v[62:63], v[26:27], v[62:63]
	v_add_f64_e32 v[58:59], v[186:187], v[58:59]
	v_mul_f64_e32 v[186:187], s[6:7], v[116:117]
	v_add_f64_e32 v[54:55], v[78:79], v[54:55]
	v_mul_f64_e32 v[78:79], s[36:37], v[132:133]
	v_mul_f64_e32 v[132:133], s[30:31], v[132:133]
	v_add_f64_e64 v[74:75], v[74:75], -v[170:171]
	v_add_f64_e32 v[70:71], v[26:27], v[70:71]
	v_mul_f64_e32 v[170:171], s[20:21], v[134:135]
	v_add_f64_e32 v[62:63], v[188:189], v[62:63]
	v_mul_f64_e32 v[188:189], s[20:21], v[116:117]
	v_add_f64_e32 v[54:55], v[66:67], v[54:55]
	v_mul_f64_e32 v[66:67], s[6:7], v[24:25]
	v_fma_f64 v[164:165], v[24:25], s[24:25], -v[78:79]
	v_fma_f64 v[78:79], v[24:25], s[24:25], v[78:79]
	v_fma_f64 v[168:169], v[24:25], s[20:21], -v[132:133]
	v_fma_f64 v[132:133], v[24:25], s[20:21], v[132:133]
	v_fma_f64 v[24:25], v[24:25], s[28:29], v[200:201]
	v_mul_f64_e32 v[200:201], s[10:11], v[134:135]
	v_add_f64_e32 v[74:75], v[26:27], v[74:75]
	v_add_f64_e32 v[70:71], v[192:193], v[70:71]
	v_add_f64_e64 v[170:171], v[170:171], -v[178:179]
	v_fma_f64 v[178:179], v[134:135], s[18:19], -v[218:219]
	v_mul_f64_e32 v[192:193], s[26:27], v[150:151]
	v_add_f64_e32 v[50:51], v[50:51], v[54:55]
	v_add_f64_e64 v[54:55], v[66:67], -v[148:149]
	v_mul_f64_e32 v[66:67], s[6:7], v[134:135]
	v_mul_f64_e32 v[148:149], s[24:25], v[134:135]
	v_add_f64_e32 v[162:163], v[26:27], v[164:165]
	v_add_f64_e32 v[78:79], v[26:27], v[78:79]
	;; [unrolled: 1-line block ×6, first 2 shown]
	v_mul_f64_e32 v[168:169], s[10:11], v[128:129]
	v_add_f64_e32 v[74:75], v[194:195], v[74:75]
	v_fma_f64 v[194:195], v[128:129], s[24:25], v[224:225]
	v_add_f64_e32 v[46:47], v[46:47], v[50:51]
	v_add_f64_e32 v[26:27], v[26:27], v[54:55]
	v_mul_f64_e32 v[50:51], s[2:3], v[128:129]
	v_mul_f64_e32 v[54:55], s[20:21], v[128:129]
	v_add_f64_e64 v[66:67], v[66:67], -v[174:175]
	v_add_f64_e64 v[148:149], v[148:149], -v[176:177]
	;; [unrolled: 1-line block ×4, first 2 shown]
	v_fma_f64 v[180:181], v[134:135], s[18:19], v[218:219]
	v_fma_f64 v[182:183], v[134:135], s[2:3], -v[220:221]
	v_add_f64_e32 v[162:163], v[202:203], v[162:163]
	v_add_f64_e32 v[78:79], v[204:205], v[78:79]
	;; [unrolled: 1-line block ×3, first 2 shown]
	v_fma_f64 v[200:201], v[134:135], s[2:3], v[220:221]
	v_fma_f64 v[216:217], v[134:135], s[28:29], -v[184:185]
	v_fma_f64 v[134:135], v[134:135], s[28:29], v[184:185]
	v_add_f64_e32 v[166:167], v[210:211], v[166:167]
	v_add_f64_e32 v[118:119], v[118:119], v[132:133]
	;; [unrolled: 1-line block ×3, first 2 shown]
	v_mul_f64_e32 v[132:133], s[28:29], v[116:117]
	v_mul_f64_e32 v[184:185], s[14:15], v[116:117]
	v_fma_f64 v[202:203], v[128:129], s[14:15], -v[172:173]
	v_add_f64_e32 v[42:43], v[42:43], v[46:47]
	v_add_f64_e32 v[26:27], v[190:191], v[26:27]
	v_mul_f64_e32 v[46:47], s[10:11], v[116:117]
	v_add_f64_e64 v[50:51], v[50:51], -v[152:153]
	v_add_f64_e64 v[54:55], v[54:55], -v[154:155]
	;; [unrolled: 1-line block ×5, first 2 shown]
	v_add_f64_e32 v[58:59], v[66:67], v[58:59]
	v_add_f64_e32 v[62:63], v[148:149], v[62:63]
	;; [unrolled: 1-line block ×4, first 2 shown]
	v_mul_f64_e32 v[190:191], s[38:39], v[150:151]
	v_fma_f64 v[158:159], v[128:129], s[28:29], -v[222:223]
	v_fma_f64 v[160:161], v[128:129], s[28:29], v[222:223]
	v_fma_f64 v[168:169], v[128:129], s[24:25], -v[224:225]
	v_add_f64_e32 v[74:75], v[178:179], v[162:163]
	v_add_f64_e32 v[78:79], v[180:181], v[78:79]
	;; [unrolled: 1-line block ×3, first 2 shown]
	v_mul_f64_e32 v[150:151], s[36:37], v[150:151]
	v_fma_f64 v[128:129], v[128:129], s[14:15], v[172:173]
	v_add_f64_e32 v[162:163], v[216:217], v[166:167]
	v_add_f64_e32 v[118:119], v[134:135], v[118:119]
	;; [unrolled: 1-line block ×3, first 2 shown]
	v_mul_f64_e32 v[134:135], s[10:11], v[20:21]
	v_mul_f64_e32 v[164:165], s[18:19], v[20:21]
	;; [unrolled: 1-line block ×3, first 2 shown]
	v_add_f64_e64 v[132:133], v[132:133], -v[138:139]
	v_add_f64_e64 v[138:139], v[186:187], -v[142:143]
	v_mul_f64_e32 v[172:173], s[22:23], v[146:147]
	v_mul_f64_e32 v[174:175], s[30:31], v[146:147]
	v_fma_f64 v[176:177], v[116:117], s[18:19], -v[192:193]
	v_mul_f64_e32 v[146:147], s[12:13], v[146:147]
	v_fma_f64 v[178:179], v[116:117], s[18:19], v[192:193]
	v_add_f64_e32 v[30:31], v[30:31], v[42:43]
	v_add_f64_e32 v[26:27], v[170:171], v[26:27]
	v_mul_f64_e32 v[42:43], s[24:25], v[20:21]
	v_mul_f64_e32 v[170:171], s[2:3], v[20:21]
	v_add_f64_e64 v[46:47], v[46:47], -v[136:137]
	v_add_f64_e64 v[136:137], v[184:185], -v[140:141]
	;; [unrolled: 1-line block ×3, first 2 shown]
	v_add_f64_e32 v[50:51], v[50:51], v[58:59]
	v_add_f64_e32 v[54:55], v[54:55], v[62:63]
	;; [unrolled: 1-line block ×4, first 2 shown]
	v_fma_f64 v[142:143], v[116:117], s[2:3], -v[190:191]
	v_fma_f64 v[144:145], v[116:117], s[2:3], v[190:191]
	v_mul_f64_e32 v[154:155], s[30:31], v[76:77]
	v_mul_f64_e32 v[156:157], s[34:35], v[76:77]
	v_add_f64_e32 v[66:67], v[158:159], v[74:75]
	v_add_f64_e32 v[70:71], v[160:161], v[78:79]
	;; [unrolled: 1-line block ×3, first 2 shown]
	v_fma_f64 v[180:181], v[116:117], s[24:25], -v[150:151]
	v_fma_f64 v[116:117], v[116:117], s[24:25], v[150:151]
	v_add_f64_e32 v[78:79], v[202:203], v[162:163]
	v_add_f64_e32 v[118:119], v[128:129], v[118:119]
	;; [unrolled: 1-line block ×3, first 2 shown]
	v_mul_f64_e32 v[128:129], s[6:7], v[4:5]
	v_mul_f64_e32 v[150:151], s[24:25], v[4:5]
	;; [unrolled: 1-line block ×4, first 2 shown]
	v_fma_f64 v[158:159], v[20:21], s[20:21], -v[174:175]
	v_fma_f64 v[160:161], v[20:21], s[20:21], v[174:175]
	v_fma_f64 v[162:163], v[20:21], s[6:7], -v[146:147]
	v_add_f64_e32 v[22:23], v[22:23], v[30:31]
	v_add_f64_e32 v[26:27], v[152:153], v[26:27]
	v_mul_f64_e32 v[30:31], s[28:29], v[4:5]
	v_mul_f64_e32 v[152:153], s[18:19], v[4:5]
	v_add_f64_e64 v[42:43], v[42:43], -v[120:121]
	v_add_f64_e64 v[120:121], v[134:135], -v[122:123]
	;; [unrolled: 1-line block ×5, first 2 shown]
	v_add_f64_e32 v[46:47], v[46:47], v[50:51]
	v_add_f64_e32 v[50:51], v[132:133], v[54:55]
	;; [unrolled: 1-line block ×4, first 2 shown]
	v_fma_f64 v[130:131], v[20:21], s[14:15], -v[172:173]
	v_fma_f64 v[134:135], v[20:21], s[14:15], v[172:173]
	v_fma_f64 v[20:21], v[20:21], s[6:7], v[146:147]
	v_add_f64_e32 v[62:63], v[142:143], v[66:67]
	v_add_f64_e32 v[66:67], v[144:145], v[70:71]
	;; [unrolled: 1-line block ×3, first 2 shown]
	v_mul_f64_e32 v[132:133], s[14:15], v[8:9]
	v_mul_f64_e32 v[138:139], s[12:13], v[52:53]
	v_add_f64_e32 v[74:75], v[180:181], v[78:79]
	v_add_f64_e32 v[78:79], v[116:117], v[118:119]
	;; [unrolled: 1-line block ×3, first 2 shown]
	v_mul_f64_e32 v[116:117], s[18:19], v[8:9]
	v_add_f64_e64 v[44:45], v[150:151], -v[44:45]
	v_mul_f64_e32 v[118:119], s[28:29], v[8:9]
	v_mul_f64_e32 v[140:141], s[16:17], v[52:53]
	;; [unrolled: 1-line block ×3, first 2 shown]
	v_fma_f64 v[142:143], v[4:5], s[14:15], -v[156:157]
	v_fma_f64 v[144:145], v[4:5], s[14:15], v[156:157]
	v_fma_f64 v[146:147], v[4:5], s[10:11], -v[76:77]
	v_add_f64_e64 v[40:41], v[148:149], -v[40:41]
	v_add_f64_e32 v[14:15], v[14:15], v[22:23]
	v_add_f64_e32 v[22:23], v[136:137], v[26:27]
	v_mul_f64_e32 v[136:137], s[24:25], v[8:9]
	v_add_f64_e64 v[30:31], v[30:31], -v[64:65]
	v_add_f64_e64 v[64:65], v[128:129], -v[68:69]
	;; [unrolled: 1-line block ×3, first 2 shown]
	v_mul_f64_e32 v[26:27], s[20:21], v[8:9]
	v_fma_f64 v[68:69], v[4:5], s[20:21], -v[154:155]
	v_fma_f64 v[128:129], v[4:5], s[20:21], v[154:155]
	v_add_f64_e32 v[42:43], v[42:43], v[46:47]
	v_add_f64_e32 v[46:47], v[120:121], v[50:51]
	;; [unrolled: 1-line block ×4, first 2 shown]
	v_fma_f64 v[4:5], v[4:5], s[10:11], v[76:77]
	v_add_f64_e32 v[58:59], v[130:131], v[62:63]
	v_add_f64_e32 v[62:63], v[134:135], v[66:67]
	;; [unrolled: 1-line block ×6, first 2 shown]
	v_fma_f64 v[74:75], v[8:9], s[10:11], -v[140:141]
	v_fma_f64 v[76:77], v[8:9], s[10:11], v[140:141]
	v_fma_f64 v[78:79], v[8:9], s[2:3], -v[52:53]
	v_add_f64_e32 v[10:11], v[10:11], v[14:15]
	v_add_f64_e32 v[14:15], v[122:123], v[22:23]
	v_add_f64_e64 v[22:23], v[116:117], -v[28:29]
	v_add_f64_e64 v[28:29], v[132:133], -v[56:57]
	;; [unrolled: 1-line block ×3, first 2 shown]
	v_fma_f64 v[60:61], v[8:9], s[6:7], -v[138:139]
	v_add_f64_e64 v[12:13], v[26:27], -v[12:13]
	v_add_f64_e64 v[26:27], v[118:119], -v[72:73]
	v_fma_f64 v[72:73], v[8:9], s[6:7], v[138:139]
	v_add_f64_e32 v[30:31], v[30:31], v[42:43]
	v_add_f64_e32 v[42:43], v[64:65], v[46:47]
	;; [unrolled: 1-line block ×4, first 2 shown]
	v_fma_f64 v[8:9], v[8:9], s[2:3], v[52:53]
	v_add_f64_e32 v[48:49], v[68:69], v[58:59]
	v_add_f64_e32 v[50:51], v[128:129], v[62:63]
	;; [unrolled: 1-line block ×20, first 2 shown]
	v_lshlrev_b32_e32 v10, 7, v111
	s_delay_alu instid0(VALU_DEP_1)
	v_add3_u32 v10, v199, v10, v196
	ds_store_2addr_b64 v10, v[100:101], v[102:103] offset0:12 offset1:13
	ds_store_2addr_b64 v10, v[104:105], v[106:107] offset0:14 offset1:15
	;; [unrolled: 1-line block ×6, first 2 shown]
	ds_store_2addr_b64 v10, v[2:3], v[12:13] offset1:1
	ds_store_2addr_b64 v10, v[14:15], v[6:7] offset0:2 offset1:3
	ds_store_b64 v10, v[0:1] offset:128
.LBB0_19:
	s_or_b32 exec_lo, exec_lo, s33
	v_add_nc_u32_e32 v3, 0x800, v198
	v_add_nc_u32_e32 v8, 0x1000, v198
	;; [unrolled: 1-line block ×4, first 2 shown]
	global_wb scope:SCOPE_SE
	s_wait_dscnt 0x0
	s_barrier_signal -1
	s_barrier_wait -1
	global_inv scope:SCOPE_SE
	ds_load_2addr_b64 v[4:7], v198 offset0:102 offset1:221
	ds_load_2addr_b64 v[12:15], v3 offset0:67 offset1:186
	;; [unrolled: 1-line block ×5, first 2 shown]
	ds_load_b64 v[28:29], v197
	ds_load_b64 v[40:41], v198 offset:9656
	s_and_saveexec_b32 s1, s0
	s_cbranch_execz .LBB0_21
; %bb.20:
	v_add_nc_u32_e32 v0, 0x600, v198
	v_add_nc_u32_e32 v1, 0x2200, v198
	ds_load_2addr_b64 v[104:107], v2 offset0:6 offset1:227
	ds_load_2addr_b64 v[100:103], v0 offset0:12 offset1:233
	ds_load_2addr_b64 v[0:3], v1 offset1:221
.LBB0_21:
	s_wait_alu 0xfffe
	s_or_b32 exec_lo, exec_lo, s1
	v_add_nc_u16 v30, v111, 0x66
	v_and_b32_e32 v31, 0xff, v111
	v_add_nc_u32_e32 v78, 0xcc, v111
	s_mov_b32 s2, 0xe8584caa
	s_mov_b32 s3, 0xbfebb67a
	v_and_b32_e32 v42, 0xff, v30
	v_mul_lo_u16 v31, 0xf1, v31
	v_and_b32_e32 v70, 0xffff, v78
	s_mov_b32 s7, 0x3febb67a
	s_wait_alu 0xfffe
	s_mov_b32 s6, s2
	v_mul_lo_u16 v42, 0xf1, v42
	v_lshrrev_b16 v148, 12, v31
	v_mul_u32_u24_e32 v79, 0xf0f1, v70
	s_delay_alu instid0(VALU_DEP_3) | instskip(NEXT) | instid1(VALU_DEP_3)
	v_lshrrev_b16 v149, 12, v42
	v_mul_lo_u16 v31, v148, 17
	s_delay_alu instid0(VALU_DEP_2) | instskip(NEXT) | instid1(VALU_DEP_2)
	v_mul_lo_u16 v42, v149, 17
	v_sub_nc_u16 v31, v111, v31
	s_delay_alu instid0(VALU_DEP_2) | instskip(NEXT) | instid1(VALU_DEP_2)
	v_sub_nc_u16 v30, v30, v42
	v_and_b32_e32 v150, 0xff, v31
	s_delay_alu instid0(VALU_DEP_2) | instskip(NEXT) | instid1(VALU_DEP_2)
	v_and_b32_e32 v151, 0xff, v30
	v_mul_u32_u24_e32 v30, 5, v150
	s_delay_alu instid0(VALU_DEP_2) | instskip(NEXT) | instid1(VALU_DEP_2)
	v_mul_u32_u24_e32 v31, 5, v151
	v_lshlrev_b32_e32 v30, 4, v30
	s_delay_alu instid0(VALU_DEP_2)
	v_lshlrev_b32_e32 v31, 4, v31
	s_clause 0x9
	global_load_b128 v[42:45], v30, s[4:5] offset:32
	global_load_b128 v[46:49], v30, s[4:5] offset:64
	;; [unrolled: 1-line block ×4, first 2 shown]
	global_load_b128 v[58:61], v30, s[4:5]
	global_load_b128 v[62:65], v31, s[4:5]
	global_load_b128 v[66:69], v30, s[4:5] offset:16
	global_load_b128 v[70:73], v30, s[4:5] offset:48
	;; [unrolled: 1-line block ×4, first 2 shown]
	v_lshrrev_b32_e32 v30, 20, v79
	s_delay_alu instid0(VALU_DEP_1) | instskip(NEXT) | instid1(VALU_DEP_1)
	v_mul_lo_u16 v30, v30, 17
	v_sub_nc_u16 v30, v78, v30
	s_delay_alu instid0(VALU_DEP_1) | instskip(NEXT) | instid1(VALU_DEP_1)
	v_and_b32_e32 v152, 0xffff, v30
	v_mul_u32_u24_e32 v30, 5, v152
	s_delay_alu instid0(VALU_DEP_1)
	v_lshlrev_b32_e32 v30, 4, v30
	s_clause 0x4
	global_load_b128 v[120:123], v30, s[4:5] offset:32
	global_load_b128 v[124:127], v30, s[4:5] offset:64
	global_load_b128 v[128:131], v30, s[4:5]
	global_load_b128 v[132:135], v30, s[4:5] offset:16
	global_load_b128 v[136:139], v30, s[4:5] offset:48
	global_wb scope:SCOPE_SE
	s_wait_loadcnt_dscnt 0x0
	s_barrier_signal -1
	s_barrier_wait -1
	global_inv scope:SCOPE_SE
	v_mul_f64_e32 v[30:31], v[90:91], v[44:45]
	v_mul_f64_e32 v[78:79], v[94:95], v[48:49]
	;; [unrolled: 1-line block ×11, first 2 shown]
	v_fma_f64 v[30:31], v[10:11], v[42:43], -v[30:31]
	v_fma_f64 v[10:11], v[22:23], v[46:47], -v[78:79]
	;; [unrolled: 1-line block ×4, first 2 shown]
	v_mul_f64_e32 v[40:41], v[6:7], v[60:61]
	v_mul_f64_e32 v[60:61], v[14:15], v[68:69]
	;; [unrolled: 1-line block ×3, first 2 shown]
	v_fma_f64 v[90:91], v[90:91], v[42:43], v[44:45]
	v_fma_f64 v[94:95], v[94:95], v[46:47], v[48:49]
	v_fma_f64 v[6:7], v[6:7], v[58:59], -v[144:145]
	v_mul_f64_e32 v[140:141], v[8:9], v[76:77]
	v_mul_f64_e32 v[142:143], v[20:21], v[118:119]
	v_fma_f64 v[50:51], v[96:97], v[50:51], v[52:53]
	v_fma_f64 v[52:53], v[114:115], v[54:55], v[56:57]
	v_fma_f64 v[12:13], v[12:13], v[62:63], -v[146:147]
	v_mul_f64_e32 v[56:57], v[86:87], v[68:69]
	v_mul_f64_e32 v[68:69], v[98:99], v[72:73]
	;; [unrolled: 1-line block ×8, first 2 shown]
	v_fma_f64 v[84:85], v[84:85], v[62:63], v[64:65]
	v_add_f64_e32 v[144:145], v[30:31], v[10:11]
	v_add_f64_e32 v[54:55], v[24:25], v[22:23]
	v_fma_f64 v[40:41], v[82:83], v[58:59], v[40:41]
	v_fma_f64 v[46:47], v[86:87], v[66:67], v[60:61]
	;; [unrolled: 1-line block ×3, first 2 shown]
	v_mul_f64_e32 v[98:99], v[18:19], v[130:131]
	v_add_f64_e32 v[58:59], v[90:91], v[94:95]
	v_add_f64_e64 v[78:79], v[90:91], -v[94:95]
	v_fma_f64 v[42:43], v[88:89], v[74:75], v[140:141]
	v_fma_f64 v[44:45], v[92:93], v[116:117], v[142:143]
	v_mul_f64_e32 v[92:93], v[102:103], v[130:131]
	v_add_f64_e32 v[86:87], v[50:51], v[52:53]
	v_add_f64_e64 v[88:89], v[50:51], -v[52:53]
	v_fma_f64 v[62:63], v[14:15], v[66:67], -v[56:57]
	v_fma_f64 v[14:15], v[26:27], v[70:71], -v[68:69]
	;; [unrolled: 1-line block ×4, first 2 shown]
	v_fma_f64 v[76:77], v[34:35], v[120:121], v[96:97]
	v_fma_f64 v[34:35], v[106:107], v[120:121], -v[114:115]
	v_fma_f64 v[74:75], v[38:39], v[124:125], v[118:119]
	v_fma_f64 v[26:27], v[2:3], v[124:125], -v[122:123]
	v_add_f64_e64 v[68:69], v[30:31], -v[10:11]
	v_add_f64_e64 v[96:97], v[24:25], -v[22:23]
	v_add_f64_e32 v[50:51], v[84:85], v[50:51]
	v_mul_f64_e32 v[106:107], v[32:33], v[134:135]
	v_mul_f64_e32 v[114:115], v[36:37], v[138:139]
	v_fma_f64 v[82:83], v[144:145], -0.5, v[6:7]
	v_fma_f64 v[54:55], v[54:55], -0.5, v[12:13]
	v_add_f64_e32 v[56:57], v[46:47], v[48:49]
	v_fma_f64 v[38:39], v[102:103], v[128:129], -v[98:99]
	v_fma_f64 v[58:59], v[58:59], -0.5, v[40:41]
	v_add_f64_e32 v[40:41], v[40:41], v[90:91]
	v_mul_f64_e32 v[102:103], v[104:105], v[134:135]
	v_add_f64_e32 v[70:71], v[42:43], v[44:45]
	v_add_f64_e64 v[90:91], v[60:61], -v[8:9]
	v_add_f64_e64 v[118:119], v[76:77], -v[74:75]
	;; [unrolled: 1-line block ×3, first 2 shown]
	v_add_f64_e32 v[50:51], v[50:51], v[52:53]
	s_wait_alu 0xfffe
	v_fma_f64 v[66:67], v[78:79], s[6:7], v[82:83]
	v_fma_f64 v[64:65], v[78:79], s[2:3], v[82:83]
	v_fma_f64 v[82:83], v[86:87], -0.5, v[84:85]
	v_fma_f64 v[20:21], v[88:89], s[6:7], v[54:55]
	v_fma_f64 v[2:3], v[88:89], s[2:3], v[54:55]
	;; [unrolled: 1-line block ×3, first 2 shown]
	v_add_f64_e32 v[54:55], v[112:113], v[46:47]
	v_add_f64_e64 v[86:87], v[62:63], -v[14:15]
	v_add_f64_e32 v[88:89], v[80:81], v[42:43]
	v_add_f64_e32 v[84:85], v[76:77], v[74:75]
	;; [unrolled: 1-line block ×3, first 2 shown]
	v_fma_f64 v[56:57], v[56:57], -0.5, v[112:113]
	v_fma_f64 v[72:73], v[68:69], s[2:3], v[58:59]
	v_fma_f64 v[18:19], v[68:69], s[6:7], v[58:59]
	v_fma_f64 v[80:81], v[70:71], -0.5, v[80:81]
	v_mul_f64_e32 v[112:113], v[0:1], v[138:139]
	v_add_f64_e32 v[40:41], v[40:41], v[94:95]
	v_fma_f64 v[52:53], v[32:33], v[132:133], v[102:103]
	v_fma_f64 v[32:33], v[0:1], v[136:137], -v[114:115]
	v_mul_f64_e32 v[58:59], s[2:3], v[66:67]
	v_mul_f64_e32 v[98:99], s[2:3], v[64:65]
	v_fma_f64 v[68:69], v[96:97], s[2:3], v[82:83]
	v_fma_f64 v[70:71], v[96:97], s[6:7], v[82:83]
	v_mul_f64_e32 v[82:83], s[2:3], v[20:21]
	v_mul_f64_e32 v[96:97], s[2:3], v[2:3]
	v_add_f64_e32 v[120:121], v[54:55], v[48:49]
	v_add_f64_e32 v[88:89], v[88:89], v[44:45]
	v_fma_f64 v[84:85], v[84:85], -0.5, v[78:79]
	v_fma_f64 v[92:93], v[92:93], -0.5, v[38:39]
	v_fma_f64 v[94:95], v[86:87], s[2:3], v[56:57]
	v_fma_f64 v[56:57], v[86:87], s[6:7], v[56:57]
	;; [unrolled: 1-line block ×5, first 2 shown]
	v_fma_f64 v[86:87], v[72:73], 0.5, v[58:59]
	v_fma_f64 v[98:99], v[18:19], -0.5, v[98:99]
	v_fma_f64 v[58:59], v[104:105], v[132:133], -v[106:107]
	v_fma_f64 v[82:83], v[68:69], 0.5, v[82:83]
	v_fma_f64 v[90:91], v[70:71], -0.5, v[96:97]
	v_add_f64_e32 v[0:1], v[120:121], v[40:41]
	v_add_f64_e64 v[96:97], v[120:121], -v[40:41]
	v_add_f64_e32 v[102:103], v[88:89], v[50:51]
	v_add_f64_e64 v[88:89], v[88:89], -v[50:51]
	v_fma_f64 v[36:37], v[116:117], s[2:3], v[84:85]
	v_fma_f64 v[40:41], v[116:117], s[6:7], v[84:85]
	;; [unrolled: 1-line block ×3, first 2 shown]
	v_add_f64_e32 v[84:85], v[94:95], v[86:87]
	v_add_f64_e32 v[104:105], v[56:57], v[98:99]
	v_add_f64_e64 v[86:87], v[94:95], -v[86:87]
	v_add_f64_e64 v[94:95], v[56:57], -v[98:99]
	v_fma_f64 v[56:57], v[118:119], s[2:3], v[92:93]
	v_add_f64_e32 v[98:99], v[122:123], v[82:83]
	v_add_f64_e32 v[106:107], v[80:81], v[90:91]
	v_add_f64_e64 v[112:113], v[122:123], -v[82:83]
	v_add_f64_e64 v[90:91], v[80:81], -v[90:91]
	v_and_b32_e32 v80, 0xffff, v148
	v_and_b32_e32 v81, 0xffff, v149
	v_lshlrev_b32_e32 v82, 3, v150
	v_lshlrev_b32_e32 v92, 3, v151
	s_delay_alu instid0(VALU_DEP_4) | instskip(NEXT) | instid1(VALU_DEP_4)
	v_mad_u32_u24 v80, 0x330, v80, 0
	v_mad_u32_u24 v83, 0x330, v81, 0
	s_delay_alu instid0(VALU_DEP_2) | instskip(SKIP_1) | instid1(VALU_DEP_3)
	v_add3_u32 v81, v80, v82, v196
	v_lshlrev_b32_e32 v80, 3, v152
	v_add3_u32 v82, v83, v92, v196
	ds_store_2addr_b64 v81, v[0:1], v[84:85] offset1:17
	ds_store_2addr_b64 v81, v[104:105], v[96:97] offset0:34 offset1:51
	ds_store_2addr_b64 v81, v[86:87], v[94:95] offset0:68 offset1:85
	ds_store_2addr_b64 v82, v[102:103], v[98:99] offset1:17
	ds_store_2addr_b64 v82, v[106:107], v[88:89] offset0:34 offset1:51
	ds_store_2addr_b64 v82, v[112:113], v[90:91] offset0:68 offset1:85
	s_and_saveexec_b32 s1, s0
	s_cbranch_execz .LBB0_23
; %bb.22:
	v_add_f64_e32 v[0:1], v[52:53], v[54:55]
	v_add_f64_e64 v[83:84], v[58:59], -v[32:33]
	v_mul_f64_e32 v[85:86], s[2:3], v[56:57]
	v_add_f64_e32 v[87:88], v[16:17], v[52:53]
	v_add_f64_e32 v[76:77], v[78:79], v[76:77]
	v_mul_f64_e32 v[78:79], s[2:3], v[50:51]
	v_fma_f64 v[0:1], v[0:1], -0.5, v[16:17]
	v_fma_f64 v[16:17], v[40:41], -0.5, v[85:86]
	v_add_f64_e32 v[85:86], v[87:88], v[54:55]
	v_add_f64_e32 v[74:75], v[76:77], v[74:75]
	v_fma_f64 v[76:77], v[36:37], 0.5, v[78:79]
	v_fma_f64 v[78:79], v[83:84], s[6:7], v[0:1]
	v_fma_f64 v[0:1], v[83:84], s[2:3], v[0:1]
	s_delay_alu instid0(VALU_DEP_4) | instskip(SKIP_1) | instid1(VALU_DEP_4)
	v_add_f64_e64 v[83:84], v[85:86], -v[74:75]
	v_add_f64_e32 v[74:75], v[85:86], v[74:75]
	v_add_f64_e64 v[85:86], v[78:79], -v[16:17]
	s_delay_alu instid0(VALU_DEP_4) | instskip(SKIP_3) | instid1(VALU_DEP_1)
	v_add_f64_e32 v[87:88], v[0:1], v[76:77]
	v_add_f64_e32 v[16:17], v[78:79], v[16:17]
	v_add_f64_e64 v[0:1], v[0:1], -v[76:77]
	v_add3_u32 v76, 0, v80, v196
	v_add_nc_u32_e32 v77, 0x2000, v76
	v_add_nc_u32_e32 v76, 0x2800, v76
	ds_store_2addr_b64 v77, v[74:75], v[87:88] offset0:200 offset1:217
	ds_store_2addr_b64 v77, v[16:17], v[83:84] offset0:234 offset1:251
	;; [unrolled: 1-line block ×3, first 2 shown]
.LBB0_23:
	s_wait_alu 0xfffe
	s_or_b32 exec_lo, exec_lo, s1
	v_add_f64_e32 v[0:1], v[62:63], v[14:15]
	v_add_f64_e32 v[16:17], v[60:61], v[8:9]
	;; [unrolled: 1-line block ×3, first 2 shown]
	v_add_f64_e64 v[46:47], v[46:47], -v[48:49]
	v_add_f64_e32 v[6:7], v[6:7], v[30:31]
	v_mul_f64_e32 v[30:31], 0.5, v[66:67]
	v_add_f64_e32 v[12:13], v[12:13], v[24:25]
	v_mul_f64_e32 v[24:25], -0.5, v[64:65]
	v_add_f64_e32 v[48:49], v[4:5], v[60:61]
	v_mul_f64_e32 v[20:21], 0.5, v[20:21]
	v_mul_f64_e32 v[2:3], -0.5, v[2:3]
	global_wb scope:SCOPE_SE
	s_wait_dscnt 0x0
	s_barrier_signal -1
	s_barrier_wait -1
	global_inv scope:SCOPE_SE
	v_fma_f64 v[0:1], v[0:1], -0.5, v[28:29]
	v_add_f64_e64 v[28:29], v[42:43], -v[44:45]
	v_fma_f64 v[4:5], v[16:17], -0.5, v[4:5]
	v_add_f64_e32 v[14:15], v[62:63], v[14:15]
	v_add_f64_e32 v[6:7], v[6:7], v[10:11]
	v_fma_f64 v[10:11], v[72:73], s[6:7], v[30:31]
	v_add_f64_e32 v[12:13], v[12:13], v[22:23]
	v_fma_f64 v[16:17], v[18:19], s[6:7], v[24:25]
	;; [unrolled: 2-line block ×3, first 2 shown]
	v_fma_f64 v[2:3], v[70:71], s[6:7], v[2:3]
	v_fma_f64 v[18:19], v[46:47], s[6:7], v[0:1]
	;; [unrolled: 1-line block ×5, first 2 shown]
	v_add_f64_e32 v[28:29], v[14:15], v[6:7]
	v_add_f64_e64 v[30:31], v[14:15], -v[6:7]
	v_add_f64_e32 v[42:43], v[8:9], v[12:13]
	v_add_f64_e64 v[44:45], v[8:9], -v[12:13]
	v_add_f64_e32 v[46:47], v[18:19], v[10:11]
	v_add_f64_e32 v[48:49], v[0:1], v[16:17]
	v_add_f64_e64 v[60:61], v[18:19], -v[10:11]
	v_add_f64_e64 v[62:63], v[0:1], -v[16:17]
	v_add_f64_e32 v[64:65], v[22:23], v[20:21]
	v_add_f64_e32 v[66:67], v[4:5], v[2:3]
	v_add_f64_e64 v[68:69], v[22:23], -v[20:21]
	v_add_f64_e64 v[70:71], v[4:5], -v[2:3]
	v_add_nc_u32_e32 v0, 0x800, v198
	v_add_nc_u32_e32 v1, 0xc00, v198
	;; [unrolled: 1-line block ×5, first 2 shown]
	ds_load_b64 v[24:25], v197
	ds_load_2addr_b64 v[8:11], v198 offset0:102 offset1:204
	ds_load_2addr_b64 v[20:23], v0 offset0:50 offset1:152
	;; [unrolled: 1-line block ×6, first 2 shown]
	global_wb scope:SCOPE_SE
	s_wait_dscnt 0x0
	s_barrier_signal -1
	s_barrier_wait -1
	global_inv scope:SCOPE_SE
	ds_store_2addr_b64 v81, v[28:29], v[46:47] offset1:17
	ds_store_2addr_b64 v81, v[48:49], v[30:31] offset0:34 offset1:51
	ds_store_2addr_b64 v81, v[60:61], v[62:63] offset0:68 offset1:85
	ds_store_2addr_b64 v82, v[42:43], v[64:65] offset1:17
	ds_store_2addr_b64 v82, v[66:67], v[44:45] offset0:34 offset1:51
	ds_store_2addr_b64 v82, v[68:69], v[70:71] offset0:68 offset1:85
	s_and_saveexec_b32 s1, s0
	s_cbranch_execz .LBB0_25
; %bb.24:
	v_add_f64_e32 v[28:29], v[58:59], v[32:33]
	v_add_f64_e32 v[30:31], v[100:101], v[58:59]
	v_add_f64_e64 v[42:43], v[52:53], -v[54:55]
	v_add_f64_e32 v[34:35], v[38:39], v[34:35]
	v_mul_f64_e32 v[38:39], 0.5, v[50:51]
	v_mul_f64_e32 v[44:45], -0.5, v[56:57]
	s_mov_b32 s2, 0xe8584caa
	s_mov_b32 s3, 0x3febb67a
	;; [unrolled: 1-line block ×3, first 2 shown]
	s_wait_alu 0xfffe
	s_mov_b32 s6, s2
	v_fma_f64 v[28:29], v[28:29], -0.5, v[100:101]
	v_add_f64_e32 v[30:31], v[30:31], v[32:33]
	v_add_f64_e32 v[26:27], v[34:35], v[26:27]
	v_fma_f64 v[32:33], v[36:37], s[2:3], v[38:39]
	v_fma_f64 v[34:35], v[40:41], s[2:3], v[44:45]
	;; [unrolled: 1-line block ×3, first 2 shown]
	s_wait_alu 0xfffe
	v_fma_f64 v[28:29], v[42:43], s[6:7], v[28:29]
	v_add_f64_e32 v[38:39], v[30:31], v[26:27]
	v_add_f64_e64 v[26:27], v[30:31], -v[26:27]
	s_delay_alu instid0(VALU_DEP_4) | instskip(NEXT) | instid1(VALU_DEP_4)
	v_add_f64_e32 v[30:31], v[36:37], v[32:33]
	v_add_f64_e32 v[40:41], v[28:29], v[34:35]
	v_add_f64_e64 v[32:33], v[36:37], -v[32:33]
	v_add_f64_e64 v[28:29], v[28:29], -v[34:35]
	v_add3_u32 v34, 0, v80, v196
	s_delay_alu instid0(VALU_DEP_1)
	v_add_nc_u32_e32 v35, 0x2000, v34
	v_add_nc_u32_e32 v34, 0x2800, v34
	ds_store_2addr_b64 v35, v[38:39], v[30:31] offset0:200 offset1:217
	ds_store_2addr_b64 v35, v[40:41], v[26:27] offset0:234 offset1:251
	;; [unrolled: 1-line block ×3, first 2 shown]
.LBB0_25:
	s_wait_alu 0xfffe
	s_or_b32 exec_lo, exec_lo, s1
	global_wb scope:SCOPE_SE
	s_wait_dscnt 0x0
	s_barrier_signal -1
	s_barrier_wait -1
	global_inv scope:SCOPE_SE
	s_and_saveexec_b32 s0, vcc_lo
	s_cbranch_execz .LBB0_27
; %bb.26:
	v_mul_u32_u24_e32 v26, 12, v111
	v_add_nc_u32_e32 v36, 0x800, v198
	v_add_nc_u32_e32 v40, 0x1800, v198
	;; [unrolled: 1-line block ×3, first 2 shown]
	s_mov_b32 s6, 0x4bc48dbf
	v_lshlrev_b32_e32 v58, 4, v26
	s_mov_b32 s7, 0xbfcea1e5
	s_mov_b32 s0, 0x93053d00
	;; [unrolled: 1-line block ×4, first 2 shown]
	s_clause 0x1
	global_load_b128 v[28:31], v58, s[4:5] offset:1408
	global_load_b128 v[32:35], v58, s[4:5] offset:1392
	ds_load_2addr_b64 v[36:39], v36 offset0:50 offset1:152
	s_mov_b32 s2, 0x4267c47c
	s_mov_b32 s12, 0x24c2f84
	;; [unrolled: 1-line block ×18, first 2 shown]
	s_wait_alu 0xfffe
	s_mov_b32 s24, s22
	s_mov_b32 s31, 0x3fcea1e5
	;; [unrolled: 1-line block ×7, first 2 shown]
	s_wait_loadcnt 0x1
	v_mul_f64_e32 v[26:27], v[22:23], v[28:29]
	v_mul_f64_e32 v[22:23], v[22:23], v[30:31]
	s_wait_dscnt 0x0
	s_delay_alu instid0(VALU_DEP_2) | instskip(NEXT) | instid1(VALU_DEP_2)
	v_fma_f64 v[26:27], v[38:39], v[30:31], v[26:27]
	v_fma_f64 v[22:23], v[38:39], v[28:29], -v[22:23]
	s_wait_loadcnt 0x0
	v_mul_f64_e32 v[28:29], v[20:21], v[32:33]
	v_mul_f64_e32 v[30:31], v[20:21], v[34:35]
	s_delay_alu instid0(VALU_DEP_2) | instskip(NEXT) | instid1(VALU_DEP_2)
	v_fma_f64 v[20:21], v[36:37], v[34:35], v[28:29]
	v_fma_f64 v[30:31], v[36:37], v[32:33], -v[30:31]
	s_clause 0x1
	global_load_b128 v[32:35], v58, s[4:5] offset:1488
	global_load_b128 v[36:39], v58, s[4:5] offset:1504
	ds_load_2addr_b64 v[40:43], v40 offset0:150 offset1:252
	s_wait_loadcnt 0x1
	v_mul_f64_e32 v[28:29], v[16:17], v[32:33]
	v_mul_f64_e32 v[16:17], v[16:17], v[34:35]
	s_wait_dscnt 0x0
	s_delay_alu instid0(VALU_DEP_2) | instskip(NEXT) | instid1(VALU_DEP_2)
	v_fma_f64 v[28:29], v[40:41], v[34:35], v[28:29]
	v_fma_f64 v[16:17], v[40:41], v[32:33], -v[16:17]
	s_wait_loadcnt 0x0
	v_mul_f64_e32 v[32:33], v[18:19], v[36:37]
	v_mul_f64_e32 v[34:35], v[18:19], v[38:39]
	s_delay_alu instid0(VALU_DEP_4) | instskip(NEXT) | instid1(VALU_DEP_4)
	v_add_f64_e64 v[120:121], v[26:27], -v[28:29]
	v_add_f64_e32 v[122:123], v[22:23], v[16:17]
	s_delay_alu instid0(VALU_DEP_4) | instskip(NEXT) | instid1(VALU_DEP_4)
	v_fma_f64 v[18:19], v[42:43], v[38:39], v[32:33]
	v_fma_f64 v[32:33], v[42:43], v[36:37], -v[34:35]
	s_clause 0x1
	global_load_b128 v[36:39], v58, s[4:5] offset:1424
	global_load_b128 v[40:43], v58, s[4:5] offset:1440
	ds_load_2addr_b64 v[44:47], v44 offset0:126 offset1:228
	v_add_f64_e64 v[124:125], v[22:23], -v[16:17]
	v_add_f64_e32 v[126:127], v[26:27], v[28:29]
	s_wait_alu 0xfffe
	v_mul_f64_e32 v[144:145], s[28:29], v[120:121]
	v_mul_f64_e32 v[168:169], s[34:35], v[120:121]
	v_add_f64_e64 v[106:107], v[20:21], -v[18:19]
	v_add_f64_e64 v[116:117], v[30:31], -v[32:33]
	v_add_f64_e32 v[118:119], v[20:21], v[18:19]
	v_mul_f64_e32 v[146:147], s[28:29], v[124:125]
	v_mul_f64_e32 v[170:171], s[34:35], v[124:125]
	;; [unrolled: 1-line block ×6, first 2 shown]
	s_wait_loadcnt 0x1
	v_mul_f64_e32 v[34:35], v[12:13], v[36:37]
	v_mul_f64_e32 v[12:13], v[12:13], v[38:39]
	s_wait_dscnt 0x0
	s_delay_alu instid0(VALU_DEP_2) | instskip(NEXT) | instid1(VALU_DEP_2)
	v_fma_f64 v[34:35], v[44:45], v[38:39], v[34:35]
	v_fma_f64 v[12:13], v[44:45], v[36:37], -v[12:13]
	s_wait_loadcnt 0x0
	v_mul_f64_e32 v[36:37], v[14:15], v[40:41]
	v_mul_f64_e32 v[38:39], v[14:15], v[42:43]
	s_delay_alu instid0(VALU_DEP_2) | instskip(NEXT) | instid1(VALU_DEP_2)
	v_fma_f64 v[14:15], v[46:47], v[42:43], v[36:37]
	v_fma_f64 v[36:37], v[46:47], v[40:41], -v[38:39]
	s_clause 0x1
	global_load_b128 v[40:43], v58, s[4:5] offset:1376
	global_load_b128 v[44:47], v58, s[4:5] offset:1360
	ds_load_2addr_b64 v[48:51], v198 offset0:102 offset1:204
	s_wait_loadcnt 0x1
	v_mul_f64_e32 v[38:39], v[10:11], v[40:41]
	v_mul_f64_e32 v[10:11], v[10:11], v[42:43]
	s_wait_dscnt 0x0
	s_delay_alu instid0(VALU_DEP_2) | instskip(NEXT) | instid1(VALU_DEP_2)
	v_fma_f64 v[38:39], v[50:51], v[42:43], v[38:39]
	v_fma_f64 v[10:11], v[50:51], v[40:41], -v[10:11]
	s_wait_loadcnt 0x0
	v_mul_f64_e32 v[40:41], v[8:9], v[44:45]
	v_mul_f64_e32 v[8:9], v[8:9], v[46:47]
	s_delay_alu instid0(VALU_DEP_2) | instskip(NEXT) | instid1(VALU_DEP_2)
	v_fma_f64 v[42:43], v[48:49], v[46:47], v[40:41]
	v_fma_f64 v[44:45], v[48:49], v[44:45], -v[8:9]
	s_clause 0x1
	global_load_b128 v[46:49], v58, s[4:5] offset:1520
	global_load_b128 v[50:53], v58, s[4:5] offset:1536
	v_add_nc_u32_e32 v40, 0x2000, v198
	ds_load_2addr_b64 v[54:57], v40 offset0:98 offset1:200
	s_wait_loadcnt 0x1
	v_mul_f64_e32 v[8:9], v[4:5], v[46:47]
	v_mul_f64_e32 v[4:5], v[4:5], v[48:49]
	s_wait_loadcnt 0x0
	v_mul_f64_e32 v[40:41], v[6:7], v[50:51]
	s_wait_dscnt 0x0
	s_delay_alu instid0(VALU_DEP_3) | instskip(NEXT) | instid1(VALU_DEP_3)
	v_fma_f64 v[8:9], v[54:55], v[48:49], v[8:9]
	v_fma_f64 v[4:5], v[54:55], v[46:47], -v[4:5]
	v_mul_f64_e32 v[46:47], v[6:7], v[52:53]
	s_delay_alu instid0(VALU_DEP_4) | instskip(NEXT) | instid1(VALU_DEP_4)
	v_fma_f64 v[6:7], v[56:57], v[52:53], v[40:41]
	v_add_f64_e64 v[62:63], v[38:39], -v[8:9]
	s_delay_alu instid0(VALU_DEP_4) | instskip(NEXT) | instid1(VALU_DEP_4)
	v_add_f64_e64 v[68:69], v[10:11], -v[4:5]
	v_fma_f64 v[40:41], v[56:57], v[50:51], -v[46:47]
	s_clause 0x1
	global_load_b128 v[48:51], v58, s[4:5] offset:1472
	global_load_b128 v[52:55], v58, s[4:5] offset:1456
	v_add_nc_u32_e32 v56, 0x1400, v198
	s_mov_b32 s4, 0xe00740e9
	s_mov_b32 s5, 0x3fec55a7
	ds_load_2addr_b64 v[56:59], v56 offset0:74 offset1:176
	v_mul_f64_e32 v[76:77], s[2:3], v[62:63]
	v_mul_f64_e32 v[80:81], s[2:3], v[68:69]
	v_add_f64_e64 v[66:67], v[44:45], -v[40:41]
	v_mul_f64_e32 v[158:159], s[18:19], v[62:63]
	v_mul_f64_e32 v[162:163], s[18:19], v[68:69]
	;; [unrolled: 1-line block ×7, first 2 shown]
	s_wait_loadcnt 0x1
	v_mul_f64_e32 v[46:47], v[2:3], v[48:49]
	v_mul_f64_e32 v[2:3], v[2:3], v[50:51]
	s_wait_dscnt 0x0
	s_delay_alu instid0(VALU_DEP_2) | instskip(NEXT) | instid1(VALU_DEP_2)
	v_fma_f64 v[46:47], v[58:59], v[50:51], v[46:47]
	v_fma_f64 v[2:3], v[58:59], v[48:49], -v[2:3]
	s_wait_loadcnt 0x0
	v_mul_f64_e32 v[48:49], v[0:1], v[52:53]
	v_mul_f64_e32 v[50:51], v[0:1], v[54:55]
	s_delay_alu instid0(VALU_DEP_4) | instskip(NEXT) | instid1(VALU_DEP_4)
	v_add_f64_e64 v[128:129], v[34:35], -v[46:47]
	v_add_f64_e32 v[130:131], v[12:13], v[2:3]
	s_delay_alu instid0(VALU_DEP_4) | instskip(NEXT) | instid1(VALU_DEP_4)
	v_fma_f64 v[0:1], v[56:57], v[54:55], v[48:49]
	v_fma_f64 v[48:49], v[56:57], v[52:53], -v[50:51]
	v_add_f64_e64 v[52:53], v[42:43], -v[6:7]
	v_add_f64_e32 v[54:55], v[44:45], v[40:41]
	ds_load_b64 v[50:51], v197
	v_add_f64_e64 v[132:133], v[12:13], -v[2:3]
	v_add_f64_e32 v[134:135], v[34:35], v[46:47]
	s_wait_dscnt 0x0
	v_add_f64_e32 v[44:45], v[50:51], v[44:45]
	v_mul_f64_e32 v[148:149], s[30:31], v[128:129]
	v_mul_f64_e32 v[172:173], s[26:27], v[128:129]
	v_add_f64_e64 v[136:137], v[14:15], -v[0:1]
	v_add_f64_e64 v[140:141], v[36:37], -v[48:49]
	v_mul_f64_e32 v[74:75], s[6:7], v[52:53]
	v_add_f64_e32 v[138:139], v[36:37], v[48:49]
	v_add_f64_e32 v[142:143], v[14:15], v[0:1]
	v_mul_f64_e32 v[150:151], s[30:31], v[132:133]
	v_mul_f64_e32 v[156:157], s[24:25], v[52:53]
	;; [unrolled: 1-line block ×6, first 2 shown]
	v_fma_f64 v[56:57], v[54:55], s[0:1], v[74:75]
	v_fma_f64 v[74:75], v[54:55], s[0:1], -v[74:75]
	v_mul_f64_e32 v[104:105], s[18:19], v[136:137]
	v_mul_f64_e32 v[111:112], s[18:19], v[140:141]
	;; [unrolled: 1-line block ×10, first 2 shown]
	v_add_f64_e32 v[58:59], v[50:51], v[56:57]
	v_add_f64_e32 v[56:57], v[10:11], v[4:5]
	;; [unrolled: 1-line block ×4, first 2 shown]
	s_delay_alu instid0(VALU_DEP_3) | instskip(SKIP_1) | instid1(VALU_DEP_3)
	v_fma_f64 v[60:61], v[56:57], s[4:5], v[76:77]
	v_fma_f64 v[76:77], v[56:57], s[4:5], -v[76:77]
	v_add_f64_e32 v[10:11], v[30:31], v[10:11]
	s_delay_alu instid0(VALU_DEP_3) | instskip(SKIP_1) | instid1(VALU_DEP_4)
	v_add_f64_e32 v[70:71], v[60:61], v[58:59]
	v_add_f64_e32 v[58:59], v[42:43], v[6:7]
	;; [unrolled: 1-line block ×3, first 2 shown]
	s_delay_alu instid0(VALU_DEP_4) | instskip(NEXT) | instid1(VALU_DEP_3)
	v_add_f64_e32 v[10:11], v[22:23], v[10:11]
	v_fma_f64 v[60:61], v[58:59], s[0:1], -v[78:79]
	v_fma_f64 v[76:77], v[58:59], s[0:1], v[78:79]
	s_delay_alu instid0(VALU_DEP_3) | instskip(NEXT) | instid1(VALU_DEP_3)
	v_add_f64_e32 v[10:11], v[12:13], v[10:11]
	v_add_f64_e32 v[64:65], v[24:25], v[60:61]
	;; [unrolled: 1-line block ×3, first 2 shown]
	s_delay_alu instid0(VALU_DEP_4) | instskip(NEXT) | instid1(VALU_DEP_4)
	v_add_f64_e32 v[76:77], v[24:25], v[76:77]
	v_add_f64_e32 v[10:11], v[36:37], v[10:11]
	s_delay_alu instid0(VALU_DEP_3)
	v_fma_f64 v[72:73], v[60:61], s[4:5], -v[80:81]
	v_fma_f64 v[78:79], v[60:61], s[4:5], v[80:81]
	v_fma_f64 v[80:81], v[142:143], s[20:21], v[98:99]
	;; [unrolled: 1-line block ×3, first 2 shown]
	v_add_f64_e32 v[10:11], v[48:49], v[10:11]
	v_add_f64_e32 v[72:73], v[72:73], v[64:65]
	;; [unrolled: 1-line block ×4, first 2 shown]
	s_delay_alu instid0(VALU_DEP_4) | instskip(NEXT) | instid1(VALU_DEP_3)
	v_add_f64_e32 v[2:3], v[2:3], v[10:11]
	v_fma_f64 v[84:85], v[64:65], s[10:11], v[82:83]
	v_fma_f64 v[78:79], v[64:65], s[10:11], -v[82:83]
	v_mul_f64_e32 v[82:83], s[12:13], v[52:53]
	s_delay_alu instid0(VALU_DEP_4) | instskip(NEXT) | instid1(VALU_DEP_4)
	v_add_f64_e32 v[2:3], v[16:17], v[2:3]
	v_add_f64_e32 v[70:71], v[84:85], v[70:71]
	v_mul_f64_e32 v[84:85], s[12:13], v[116:117]
	v_add_f64_e32 v[74:75], v[78:79], v[74:75]
	s_delay_alu instid0(VALU_DEP_4) | instskip(NEXT) | instid1(VALU_DEP_3)
	v_add_f64_e32 v[2:3], v[32:33], v[2:3]
	v_fma_f64 v[86:87], v[118:119], s[10:11], -v[84:85]
	v_fma_f64 v[78:79], v[118:119], s[10:11], v[84:85]
	v_mul_f64_e32 v[84:85], s[26:27], v[62:63]
	s_delay_alu instid0(VALU_DEP_4)
	v_add_f64_e32 v[2:3], v[4:5], v[2:3]
	v_lshlrev_b64_e32 v[4:5], 4, v[108:109]
	v_add_f64_e32 v[72:73], v[86:87], v[72:73]
	v_mul_f64_e32 v[86:87], s[22:23], v[120:121]
	v_add_f64_e32 v[76:77], v[78:79], v[76:77]
	v_add_f64_e32 v[2:3], v[40:41], v[2:3]
	s_delay_alu instid0(VALU_DEP_3) | instskip(SKIP_2) | instid1(VALU_DEP_3)
	v_fma_f64 v[88:89], v[122:123], s[14:15], v[86:87]
	v_fma_f64 v[78:79], v[122:123], s[14:15], -v[86:87]
	v_mul_f64_e32 v[86:87], s[12:13], v[66:67]
	v_add_f64_e32 v[70:71], v[88:89], v[70:71]
	v_mul_f64_e32 v[88:89], s[22:23], v[124:125]
	s_delay_alu instid0(VALU_DEP_4) | instskip(SKIP_2) | instid1(VALU_DEP_2)
	v_add_f64_e32 v[74:75], v[78:79], v[74:75]
	s_mov_b32 s23, 0x3fedeba7
	s_mov_b32 s22, s18
	v_fma_f64 v[90:91], v[126:127], s[14:15], -v[88:89]
	v_fma_f64 v[78:79], v[126:127], s[14:15], v[88:89]
	v_mul_f64_e32 v[88:89], s[26:27], v[68:69]
	s_delay_alu instid0(VALU_DEP_3) | instskip(SKIP_1) | instid1(VALU_DEP_4)
	v_add_f64_e32 v[72:73], v[90:91], v[72:73]
	v_mul_f64_e32 v[90:91], s[18:19], v[128:129]
	v_add_f64_e32 v[76:77], v[78:79], v[76:77]
	s_delay_alu instid0(VALU_DEP_2) | instskip(SKIP_2) | instid1(VALU_DEP_3)
	v_fma_f64 v[92:93], v[130:131], s[16:17], v[90:91]
	v_fma_f64 v[78:79], v[130:131], s[16:17], -v[90:91]
	v_fma_f64 v[90:91], v[60:61], s[20:21], -v[88:89]
	v_add_f64_e32 v[70:71], v[92:93], v[70:71]
	v_mul_f64_e32 v[92:93], s[18:19], v[132:133]
	s_delay_alu instid0(VALU_DEP_4) | instskip(NEXT) | instid1(VALU_DEP_2)
	v_add_f64_e32 v[74:75], v[78:79], v[74:75]
	v_fma_f64 v[78:79], v[134:135], s[16:17], v[92:93]
	v_fma_f64 v[94:95], v[134:135], s[16:17], -v[92:93]
	s_delay_alu instid0(VALU_DEP_2) | instskip(SKIP_1) | instid1(VALU_DEP_3)
	v_add_f64_e32 v[78:79], v[78:79], v[76:77]
	v_fma_f64 v[76:77], v[138:139], s[20:21], -v[96:97]
	v_add_f64_e32 v[94:95], v[94:95], v[72:73]
	v_fma_f64 v[72:73], v[138:139], s[20:21], v[96:97]
	s_delay_alu instid0(VALU_DEP_3)
	v_add_f64_e32 v[76:77], v[76:77], v[74:75]
	v_add_f64_e32 v[74:75], v[80:81], v[78:79]
	v_fma_f64 v[78:79], v[54:55], s[10:11], v[82:83]
	v_fma_f64 v[80:81], v[56:57], s[20:21], v[84:85]
	v_add_f64_e32 v[72:73], v[72:73], v[70:71]
	v_fma_f64 v[70:71], v[142:143], s[20:21], -v[98:99]
	v_fma_f64 v[82:83], v[54:55], s[10:11], -v[82:83]
	;; [unrolled: 1-line block ×3, first 2 shown]
	v_add_f64_e32 v[78:79], v[50:51], v[78:79]
	s_delay_alu instid0(VALU_DEP_4) | instskip(NEXT) | instid1(VALU_DEP_4)
	v_add_f64_e32 v[70:71], v[70:71], v[94:95]
	v_add_f64_e32 v[82:83], v[50:51], v[82:83]
	s_delay_alu instid0(VALU_DEP_3) | instskip(SKIP_1) | instid1(VALU_DEP_3)
	v_add_f64_e32 v[78:79], v[80:81], v[78:79]
	v_fma_f64 v[80:81], v[58:59], s[10:11], -v[86:87]
	v_add_f64_e32 v[82:83], v[84:85], v[82:83]
	v_fma_f64 v[84:85], v[58:59], s[10:11], v[86:87]
	v_fma_f64 v[86:87], v[60:61], s[20:21], v[88:89]
	;; [unrolled: 1-line block ×3, first 2 shown]
	v_add_f64_e32 v[80:81], v[24:25], v[80:81]
	s_delay_alu instid0(VALU_DEP_4) | instskip(NEXT) | instid1(VALU_DEP_2)
	v_add_f64_e32 v[84:85], v[24:25], v[84:85]
	v_add_f64_e32 v[80:81], v[90:91], v[80:81]
	v_mul_f64_e32 v[90:91], s[24:25], v[106:107]
	s_delay_alu instid0(VALU_DEP_3) | instskip(NEXT) | instid1(VALU_DEP_2)
	v_add_f64_e32 v[84:85], v[86:87], v[84:85]
	v_fma_f64 v[92:93], v[64:65], s[14:15], v[90:91]
	v_fma_f64 v[86:87], v[64:65], s[14:15], -v[90:91]
	s_delay_alu instid0(VALU_DEP_2) | instskip(SKIP_1) | instid1(VALU_DEP_3)
	v_add_f64_e32 v[78:79], v[92:93], v[78:79]
	v_mul_f64_e32 v[92:93], s[24:25], v[116:117]
	v_add_f64_e32 v[82:83], v[86:87], v[82:83]
	s_delay_alu instid0(VALU_DEP_2) | instskip(SKIP_2) | instid1(VALU_DEP_3)
	v_fma_f64 v[94:95], v[118:119], s[14:15], -v[92:93]
	v_fma_f64 v[86:87], v[118:119], s[14:15], v[92:93]
	v_fma_f64 v[92:93], v[56:57], s[16:17], -v[158:159]
	v_add_f64_e32 v[80:81], v[94:95], v[80:81]
	v_mul_f64_e32 v[94:95], s[30:31], v[120:121]
	s_delay_alu instid0(VALU_DEP_4) | instskip(NEXT) | instid1(VALU_DEP_2)
	v_add_f64_e32 v[84:85], v[86:87], v[84:85]
	v_fma_f64 v[96:97], v[122:123], s[0:1], v[94:95]
	v_fma_f64 v[86:87], v[122:123], s[0:1], -v[94:95]
	v_fma_f64 v[94:95], v[60:61], s[16:17], v[162:163]
	s_delay_alu instid0(VALU_DEP_3) | instskip(SKIP_1) | instid1(VALU_DEP_4)
	v_add_f64_e32 v[78:79], v[96:97], v[78:79]
	v_mul_f64_e32 v[96:97], s[30:31], v[124:125]
	v_add_f64_e32 v[82:83], v[86:87], v[82:83]
	s_delay_alu instid0(VALU_DEP_2) | instskip(SKIP_2) | instid1(VALU_DEP_3)
	v_fma_f64 v[98:99], v[126:127], s[0:1], -v[96:97]
	v_fma_f64 v[86:87], v[126:127], s[0:1], v[96:97]
	v_fma_f64 v[96:97], v[56:57], s[0:1], -v[182:183]
	v_add_f64_e32 v[80:81], v[98:99], v[80:81]
	v_mul_f64_e32 v[98:99], s[2:3], v[128:129]
	s_delay_alu instid0(VALU_DEP_4) | instskip(NEXT) | instid1(VALU_DEP_2)
	v_add_f64_e32 v[84:85], v[86:87], v[84:85]
	v_fma_f64 v[100:101], v[130:131], s[4:5], v[98:99]
	v_fma_f64 v[86:87], v[130:131], s[4:5], -v[98:99]
	v_mul_f64_e32 v[98:99], s[18:19], v[52:53]
	s_delay_alu instid0(VALU_DEP_3) | instskip(SKIP_1) | instid1(VALU_DEP_4)
	v_add_f64_e32 v[78:79], v[100:101], v[78:79]
	v_mul_f64_e32 v[100:101], s[2:3], v[132:133]
	v_add_f64_e32 v[82:83], v[86:87], v[82:83]
	s_delay_alu instid0(VALU_DEP_2) | instskip(SKIP_3) | instid1(VALU_DEP_4)
	v_fma_f64 v[102:103], v[134:135], s[4:5], -v[100:101]
	v_fma_f64 v[86:87], v[134:135], s[4:5], v[100:101]
	v_mul_f64_e32 v[100:101], s[34:35], v[62:63]
	v_mul_f64_e32 v[62:63], s[24:25], v[62:63]
	v_add_f64_e32 v[102:103], v[102:103], v[80:81]
	v_fma_f64 v[80:81], v[138:139], s[16:17], v[104:105]
	v_add_f64_e32 v[86:87], v[86:87], v[84:85]
	v_fma_f64 v[84:85], v[138:139], s[16:17], -v[104:105]
	v_mul_f64_e32 v[104:105], s[34:35], v[68:69]
	s_delay_alu instid0(VALU_DEP_4) | instskip(SKIP_1) | instid1(VALU_DEP_4)
	v_add_f64_e32 v[80:81], v[80:81], v[78:79]
	v_fma_f64 v[78:79], v[142:143], s[16:17], -v[111:112]
	v_add_f64_e32 v[84:85], v[84:85], v[82:83]
	v_add_f64_e32 v[82:83], v[88:89], v[86:87]
	v_fma_f64 v[86:87], v[54:55], s[16:17], v[98:99]
	v_fma_f64 v[88:89], v[56:57], s[10:11], v[100:101]
	v_fma_f64 v[90:91], v[60:61], s[10:11], -v[104:105]
	v_mul_f64_e32 v[111:112], s[2:3], v[106:107]
	v_fma_f64 v[98:99], v[54:55], s[16:17], -v[98:99]
	v_fma_f64 v[100:101], v[56:57], s[10:11], -v[100:101]
	v_add_f64_e32 v[78:79], v[78:79], v[102:103]
	v_mul_f64_e32 v[102:103], s[18:19], v[66:67]
	v_add_f64_e32 v[86:87], v[50:51], v[86:87]
	v_add_f64_e32 v[98:99], v[50:51], v[98:99]
	s_delay_alu instid0(VALU_DEP_2) | instskip(NEXT) | instid1(VALU_DEP_4)
	v_add_f64_e32 v[86:87], v[88:89], v[86:87]
	v_fma_f64 v[88:89], v[58:59], s[16:17], -v[102:103]
	s_delay_alu instid0(VALU_DEP_3) | instskip(SKIP_4) | instid1(VALU_DEP_4)
	v_add_f64_e32 v[98:99], v[100:101], v[98:99]
	v_fma_f64 v[100:101], v[58:59], s[16:17], v[102:103]
	v_fma_f64 v[102:103], v[60:61], s[10:11], v[104:105]
	;; [unrolled: 1-line block ×3, first 2 shown]
	v_add_f64_e32 v[88:89], v[24:25], v[88:89]
	v_add_f64_e32 v[100:101], v[24:25], v[100:101]
	s_delay_alu instid0(VALU_DEP_2) | instskip(SKIP_1) | instid1(VALU_DEP_3)
	v_add_f64_e32 v[88:89], v[90:91], v[88:89]
	v_fma_f64 v[90:91], v[64:65], s[4:5], v[111:112]
	v_add_f64_e32 v[100:101], v[102:103], v[100:101]
	v_fma_f64 v[102:103], v[64:65], s[4:5], -v[111:112]
	v_fma_f64 v[111:112], v[60:61], s[0:1], -v[186:187]
	s_delay_alu instid0(VALU_DEP_4) | instskip(SKIP_1) | instid1(VALU_DEP_4)
	v_add_f64_e32 v[86:87], v[90:91], v[86:87]
	v_fma_f64 v[90:91], v[118:119], s[4:5], -v[113:114]
	v_add_f64_e32 v[98:99], v[102:103], v[98:99]
	v_fma_f64 v[102:103], v[118:119], s[4:5], v[113:114]
	v_fma_f64 v[113:114], v[142:143], s[10:11], -v[204:205]
	s_delay_alu instid0(VALU_DEP_4) | instskip(SKIP_1) | instid1(VALU_DEP_4)
	v_add_f64_e32 v[88:89], v[90:91], v[88:89]
	v_fma_f64 v[90:91], v[122:123], s[20:21], v[144:145]
	v_add_f64_e32 v[100:101], v[102:103], v[100:101]
	v_fma_f64 v[102:103], v[122:123], s[20:21], -v[144:145]
	v_fma_f64 v[144:145], v[60:61], s[16:17], -v[162:163]
	s_delay_alu instid0(VALU_DEP_4) | instskip(SKIP_1) | instid1(VALU_DEP_4)
	v_add_f64_e32 v[86:87], v[90:91], v[86:87]
	v_fma_f64 v[90:91], v[126:127], s[20:21], -v[146:147]
	v_add_f64_e32 v[98:99], v[102:103], v[98:99]
	v_fma_f64 v[102:103], v[126:127], s[20:21], v[146:147]
	v_fma_f64 v[146:147], v[142:143], s[4:5], -v[178:179]
	s_delay_alu instid0(VALU_DEP_4) | instskip(SKIP_1) | instid1(VALU_DEP_4)
	v_add_f64_e32 v[88:89], v[90:91], v[88:89]
	v_fma_f64 v[90:91], v[130:131], s[0:1], v[148:149]
	v_add_f64_e32 v[100:101], v[102:103], v[100:101]
	v_fma_f64 v[102:103], v[130:131], s[0:1], -v[148:149]
	v_mul_f64_e32 v[148:149], s[24:25], v[68:69]
	s_delay_alu instid0(VALU_DEP_4) | instskip(SKIP_1) | instid1(VALU_DEP_4)
	v_add_f64_e32 v[86:87], v[90:91], v[86:87]
	v_fma_f64 v[90:91], v[134:135], s[0:1], -v[150:151]
	v_add_f64_e32 v[98:99], v[102:103], v[98:99]
	v_fma_f64 v[102:103], v[134:135], s[0:1], v[150:151]
	v_fma_f64 v[68:69], v[60:61], s[14:15], v[148:149]
	v_fma_f64 v[60:61], v[60:61], s[14:15], -v[148:149]
	v_add_f64_e32 v[90:91], v[90:91], v[88:89]
	v_fma_f64 v[88:89], v[138:139], s[14:15], v[152:153]
	v_add_f64_e32 v[102:103], v[102:103], v[100:101]
	v_fma_f64 v[100:101], v[138:139], s[14:15], -v[152:153]
	s_delay_alu instid0(VALU_DEP_3) | instskip(SKIP_1) | instid1(VALU_DEP_3)
	v_add_f64_e32 v[88:89], v[88:89], v[86:87]
	v_fma_f64 v[86:87], v[142:143], s[14:15], -v[154:155]
	v_add_f64_e32 v[100:101], v[100:101], v[98:99]
	v_add_f64_e32 v[98:99], v[104:105], v[102:103]
	v_fma_f64 v[102:103], v[54:55], s[20:21], v[180:181]
	v_fma_f64 v[104:105], v[56:57], s[0:1], v[182:183]
	v_add_f64_e32 v[86:87], v[86:87], v[90:91]
	v_fma_f64 v[90:91], v[54:55], s[14:15], -v[156:157]
	s_delay_alu instid0(VALU_DEP_4) | instskip(NEXT) | instid1(VALU_DEP_2)
	v_add_f64_e32 v[102:103], v[50:51], v[102:103]
	v_add_f64_e32 v[90:91], v[50:51], v[90:91]
	s_delay_alu instid0(VALU_DEP_2) | instskip(SKIP_1) | instid1(VALU_DEP_3)
	v_add_f64_e32 v[102:103], v[104:105], v[102:103]
	v_fma_f64 v[104:105], v[58:59], s[20:21], -v[184:185]
	v_add_f64_e32 v[90:91], v[92:93], v[90:91]
	v_fma_f64 v[92:93], v[58:59], s[14:15], v[160:161]
	s_delay_alu instid0(VALU_DEP_3) | instskip(NEXT) | instid1(VALU_DEP_2)
	v_add_f64_e32 v[104:105], v[24:25], v[104:105]
	v_add_f64_e32 v[92:93], v[24:25], v[92:93]
	s_delay_alu instid0(VALU_DEP_2) | instskip(NEXT) | instid1(VALU_DEP_2)
	v_add_f64_e32 v[104:105], v[111:112], v[104:105]
	v_add_f64_e32 v[92:93], v[94:95], v[92:93]
	v_fma_f64 v[94:95], v[64:65], s[0:1], -v[164:165]
	s_delay_alu instid0(VALU_DEP_1) | instskip(SKIP_1) | instid1(VALU_DEP_1)
	v_add_f64_e32 v[90:91], v[94:95], v[90:91]
	v_fma_f64 v[94:95], v[118:119], s[0:1], v[166:167]
	v_add_f64_e32 v[92:93], v[94:95], v[92:93]
	v_fma_f64 v[94:95], v[122:123], s[10:11], -v[168:169]
	s_delay_alu instid0(VALU_DEP_1) | instskip(SKIP_1) | instid1(VALU_DEP_1)
	v_add_f64_e32 v[90:91], v[94:95], v[90:91]
	v_fma_f64 v[94:95], v[126:127], s[10:11], v[170:171]
	;; [unrolled: 5-line block ×4, first 2 shown]
	v_add_f64_e32 v[90:91], v[90:91], v[94:95]
	v_fma_f64 v[94:95], v[54:55], s[20:21], -v[180:181]
	s_delay_alu instid0(VALU_DEP_1) | instskip(NEXT) | instid1(VALU_DEP_1)
	v_add_f64_e32 v[94:95], v[50:51], v[94:95]
	v_add_f64_e32 v[94:95], v[96:97], v[94:95]
	v_fma_f64 v[96:97], v[58:59], s[20:21], v[184:185]
	s_delay_alu instid0(VALU_DEP_1) | instskip(NEXT) | instid1(VALU_DEP_1)
	v_add_f64_e32 v[96:97], v[24:25], v[96:97]
	v_add_f64_e32 v[96:97], v[188:189], v[96:97]
	s_wait_alu 0xfffe
	v_mul_f64_e32 v[188:189], s[22:23], v[106:107]
	v_mul_f64_e32 v[106:107], s[28:29], v[106:107]
	s_delay_alu instid0(VALU_DEP_2) | instskip(SKIP_1) | instid1(VALU_DEP_2)
	v_fma_f64 v[190:191], v[64:65], s[16:17], -v[188:189]
	v_fma_f64 v[111:112], v[64:65], s[16:17], v[188:189]
	v_add_f64_e32 v[94:95], v[190:191], v[94:95]
	v_mul_f64_e32 v[190:191], s[22:23], v[116:117]
	s_delay_alu instid0(VALU_DEP_3) | instskip(SKIP_1) | instid1(VALU_DEP_3)
	v_add_f64_e32 v[102:103], v[111:112], v[102:103]
	v_mul_f64_e32 v[116:117], s[28:29], v[116:117]
	v_fma_f64 v[192:193], v[118:119], s[16:17], v[190:191]
	v_fma_f64 v[111:112], v[118:119], s[16:17], -v[190:191]
	s_delay_alu instid0(VALU_DEP_2) | instskip(SKIP_1) | instid1(VALU_DEP_3)
	v_add_f64_e32 v[96:97], v[192:193], v[96:97]
	v_mul_f64_e32 v[192:193], s[2:3], v[120:121]
	v_add_f64_e32 v[104:105], v[111:112], v[104:105]
	v_mul_f64_e32 v[120:121], s[18:19], v[120:121]
	s_delay_alu instid0(VALU_DEP_3) | instskip(SKIP_1) | instid1(VALU_DEP_2)
	v_fma_f64 v[194:195], v[122:123], s[4:5], -v[192:193]
	v_fma_f64 v[111:112], v[122:123], s[4:5], v[192:193]
	v_add_f64_e32 v[94:95], v[194:195], v[94:95]
	v_mul_f64_e32 v[194:195], s[2:3], v[124:125]
	s_delay_alu instid0(VALU_DEP_3) | instskip(SKIP_4) | instid1(VALU_DEP_4)
	v_add_f64_e32 v[102:103], v[111:112], v[102:103]
	s_mov_b32 s3, 0xbfddbe06
	v_mul_f64_e32 v[124:125], s[18:19], v[124:125]
	s_wait_alu 0xfffe
	v_mul_f64_e32 v[52:53], s[2:3], v[52:53]
	v_fma_f64 v[196:197], v[126:127], s[4:5], v[194:195]
	v_fma_f64 v[111:112], v[126:127], s[4:5], -v[194:195]
	s_delay_alu instid0(VALU_DEP_2) | instskip(SKIP_1) | instid1(VALU_DEP_3)
	v_add_f64_e32 v[96:97], v[196:197], v[96:97]
	v_mul_f64_e32 v[196:197], s[24:25], v[128:129]
	v_add_f64_e32 v[104:105], v[111:112], v[104:105]
	v_mul_f64_e32 v[128:129], s[12:13], v[128:129]
	s_delay_alu instid0(VALU_DEP_3) | instskip(SKIP_1) | instid1(VALU_DEP_2)
	v_fma_f64 v[198:199], v[130:131], s[14:15], -v[196:197]
	v_fma_f64 v[111:112], v[130:131], s[14:15], v[196:197]
	v_add_f64_e32 v[94:95], v[198:199], v[94:95]
	v_mul_f64_e32 v[198:199], s[24:25], v[132:133]
	s_delay_alu instid0(VALU_DEP_3) | instskip(SKIP_1) | instid1(VALU_DEP_3)
	v_add_f64_e32 v[102:103], v[111:112], v[102:103]
	v_mul_f64_e32 v[132:133], s[12:13], v[132:133]
	v_fma_f64 v[111:112], v[134:135], s[14:15], -v[198:199]
	v_fma_f64 v[200:201], v[134:135], s[14:15], v[198:199]
	s_delay_alu instid0(VALU_DEP_2) | instskip(SKIP_1) | instid1(VALU_DEP_3)
	v_add_f64_e32 v[111:112], v[111:112], v[104:105]
	v_fma_f64 v[104:105], v[138:139], s[10:11], v[202:203]
	v_add_f64_e32 v[200:201], v[200:201], v[96:97]
	v_fma_f64 v[96:97], v[138:139], s[10:11], -v[202:203]
	s_delay_alu instid0(VALU_DEP_3)
	v_add_f64_e32 v[104:105], v[104:105], v[102:103]
	v_add_f64_e32 v[102:103], v[113:114], v[111:112]
	v_fma_f64 v[111:112], v[54:55], s[14:15], v[156:157]
	v_fma_f64 v[113:114], v[56:57], s[16:17], v[158:159]
	v_add_f64_e32 v[96:97], v[96:97], v[94:95]
	v_fma_f64 v[94:95], v[142:143], s[10:11], v[204:205]
	s_delay_alu instid0(VALU_DEP_4) | instskip(NEXT) | instid1(VALU_DEP_2)
	v_add_f64_e32 v[111:112], v[50:51], v[111:112]
	v_add_f64_e32 v[94:95], v[94:95], v[200:201]
	s_delay_alu instid0(VALU_DEP_2) | instskip(SKIP_1) | instid1(VALU_DEP_1)
	v_add_f64_e32 v[111:112], v[113:114], v[111:112]
	v_fma_f64 v[113:114], v[58:59], s[14:15], -v[160:161]
	v_add_f64_e32 v[113:114], v[24:25], v[113:114]
	s_delay_alu instid0(VALU_DEP_1) | instskip(SKIP_1) | instid1(VALU_DEP_1)
	v_add_f64_e32 v[113:114], v[144:145], v[113:114]
	v_fma_f64 v[144:145], v[64:65], s[0:1], v[164:165]
	v_add_f64_e32 v[111:112], v[144:145], v[111:112]
	v_fma_f64 v[144:145], v[118:119], s[0:1], -v[166:167]
	s_delay_alu instid0(VALU_DEP_1) | instskip(SKIP_1) | instid1(VALU_DEP_1)
	v_add_f64_e32 v[113:114], v[144:145], v[113:114]
	v_fma_f64 v[144:145], v[122:123], s[10:11], v[168:169]
	v_add_f64_e32 v[111:112], v[144:145], v[111:112]
	v_fma_f64 v[144:145], v[126:127], s[10:11], -v[170:171]
	;; [unrolled: 5-line block ×3, first 2 shown]
	s_delay_alu instid0(VALU_DEP_1) | instskip(SKIP_1) | instid1(VALU_DEP_1)
	v_add_f64_e32 v[144:145], v[144:145], v[113:114]
	v_fma_f64 v[113:114], v[138:139], s[4:5], v[176:177]
	v_add_f64_e32 v[114:115], v[113:114], v[111:112]
	v_mov_b32_e32 v111, 0
	s_delay_alu instid0(VALU_DEP_4)
	v_add_f64_e32 v[112:113], v[146:147], v[144:145]
	v_fma_f64 v[144:145], v[54:55], s[4:5], -v[52:53]
	v_fma_f64 v[146:147], v[56:57], s[14:15], -v[62:63]
	v_fma_f64 v[52:53], v[54:55], s[4:5], v[52:53]
	v_fma_f64 v[56:57], v[56:57], s[14:15], v[62:63]
	;; [unrolled: 1-line block ×3, first 2 shown]
	v_fma_f64 v[62:63], v[118:119], s[20:21], -v[116:117]
	v_add_f64_e32 v[144:145], v[50:51], v[144:145]
	v_add_f64_e32 v[52:53], v[50:51], v[52:53]
	s_delay_alu instid0(VALU_DEP_2) | instskip(SKIP_1) | instid1(VALU_DEP_3)
	v_add_f64_e32 v[144:145], v[146:147], v[144:145]
	v_mul_f64_e32 v[146:147], s[2:3], v[66:67]
	v_add_f64_e32 v[52:53], v[56:57], v[52:53]
	s_delay_alu instid0(VALU_DEP_2) | instskip(SKIP_1) | instid1(VALU_DEP_3)
	v_fma_f64 v[66:67], v[58:59], s[4:5], v[146:147]
	v_fma_f64 v[58:59], v[58:59], s[4:5], -v[146:147]
	v_add_f64_e32 v[52:53], v[54:55], v[52:53]
	s_delay_alu instid0(VALU_DEP_3) | instskip(NEXT) | instid1(VALU_DEP_3)
	v_add_f64_e32 v[66:67], v[24:25], v[66:67]
	v_add_f64_e32 v[56:57], v[24:25], v[58:59]
	v_add_f64_e32 v[24:25], v[24:25], v[42:43]
	v_fma_f64 v[58:59], v[122:123], s[16:17], v[120:121]
	s_delay_alu instid0(VALU_DEP_4) | instskip(SKIP_1) | instid1(VALU_DEP_4)
	v_add_f64_e32 v[66:67], v[68:69], v[66:67]
	v_fma_f64 v[68:69], v[64:65], s[20:21], -v[106:107]
	v_add_f64_e32 v[24:25], v[38:39], v[24:25]
	v_add_f64_e32 v[56:57], v[60:61], v[56:57]
	v_fma_f64 v[60:61], v[126:127], s[16:17], -v[124:125]
	v_add_f64_e32 v[52:53], v[58:59], v[52:53]
	v_fma_f64 v[58:59], v[138:139], s[0:1], v[136:137]
	v_add_f64_e32 v[68:69], v[68:69], v[144:145]
	v_add_f64_e32 v[20:21], v[20:21], v[24:25]
	v_fma_f64 v[144:145], v[118:119], s[20:21], v[116:117]
	v_add_f64_e32 v[54:55], v[62:63], v[56:57]
	v_fma_f64 v[56:57], v[130:131], s[10:11], v[128:129]
	v_fma_f64 v[62:63], v[134:135], s[10:11], -v[132:133]
	v_add_f64_e32 v[20:21], v[26:27], v[20:21]
	v_add_f64_e32 v[66:67], v[144:145], v[66:67]
	v_fma_f64 v[144:145], v[122:123], s[16:17], -v[120:121]
	v_add_f64_e32 v[54:55], v[60:61], v[54:55]
	v_fma_f64 v[60:61], v[142:143], s[0:1], -v[140:141]
	v_add_f64_e32 v[52:53], v[56:57], v[52:53]
	v_add_f64_e32 v[12:13], v[34:35], v[20:21]
	;; [unrolled: 1-line block ×3, first 2 shown]
	v_fma_f64 v[144:145], v[126:127], s[16:17], v[124:125]
	v_add_f64_e32 v[56:57], v[62:63], v[54:55]
	v_add_f64_e32 v[54:55], v[58:59], v[52:53]
	;; [unrolled: 1-line block ×3, first 2 shown]
	s_delay_alu instid0(VALU_DEP_4) | instskip(SKIP_2) | instid1(VALU_DEP_4)
	v_add_f64_e32 v[66:67], v[144:145], v[66:67]
	v_fma_f64 v[144:145], v[130:131], s[10:11], -v[128:129]
	v_add_f64_e32 v[52:53], v[60:61], v[56:57]
	v_add_f64_e32 v[0:1], v[0:1], v[12:13]
	s_delay_alu instid0(VALU_DEP_3) | instskip(SKIP_1) | instid1(VALU_DEP_3)
	v_add_f64_e32 v[68:69], v[144:145], v[68:69]
	v_fma_f64 v[144:145], v[134:135], s[10:11], v[132:133]
	v_add_f64_e32 v[0:1], v[46:47], v[0:1]
	s_delay_alu instid0(VALU_DEP_2) | instskip(SKIP_1) | instid1(VALU_DEP_3)
	v_add_f64_e32 v[66:67], v[144:145], v[66:67]
	v_fma_f64 v[144:145], v[138:139], s[0:1], -v[136:137]
	v_add_f64_e32 v[0:1], v[28:29], v[0:1]
	s_delay_alu instid0(VALU_DEP_2) | instskip(SKIP_1) | instid1(VALU_DEP_3)
	v_add_f64_e32 v[68:69], v[144:145], v[68:69]
	v_fma_f64 v[144:145], v[142:143], s[0:1], v[140:141]
	v_add_f64_e32 v[0:1], v[18:19], v[0:1]
	s_delay_alu instid0(VALU_DEP_2) | instskip(NEXT) | instid1(VALU_DEP_2)
	v_add_f64_e32 v[66:67], v[144:145], v[66:67]
	v_add_f64_e32 v[0:1], v[8:9], v[0:1]
	s_delay_alu instid0(VALU_DEP_1) | instskip(SKIP_4) | instid1(VALU_DEP_1)
	v_add_f64_e32 v[0:1], v[6:7], v[0:1]
	v_add_co_u32 v6, vcc_lo, s8, v4
	s_wait_alu 0xfffd
	v_add_co_ci_u32_e32 v7, vcc_lo, s9, v5, vcc_lo
	v_lshlrev_b64_e32 v[4:5], 4, v[110:111]
	v_add_co_u32 v4, vcc_lo, v6, v4
	s_wait_alu 0xfffd
	s_delay_alu instid0(VALU_DEP_2)
	v_add_co_ci_u32_e32 v5, vcc_lo, v7, v5, vcc_lo
	s_clause 0xc
	global_store_b128 v[4:5], v[90:93], off offset:3264
	global_store_b128 v[4:5], v[94:97], off offset:4896
	;; [unrolled: 1-line block ×11, first 2 shown]
	global_store_b128 v[4:5], v[0:3], off
	global_store_b128 v[4:5], v[52:55], off offset:19584
.LBB0_27:
	s_nop 0
	s_sendmsg sendmsg(MSG_DEALLOC_VGPRS)
	s_endpgm
	.section	.rodata,"a",@progbits
	.p2align	6, 0x0
	.amdhsa_kernel fft_rtc_back_len1326_factors_17_6_13_wgs_204_tpt_102_halfLds_dp_ip_CI_unitstride_sbrr_dirReg
		.amdhsa_group_segment_fixed_size 0
		.amdhsa_private_segment_fixed_size 0
		.amdhsa_kernarg_size 88
		.amdhsa_user_sgpr_count 2
		.amdhsa_user_sgpr_dispatch_ptr 0
		.amdhsa_user_sgpr_queue_ptr 0
		.amdhsa_user_sgpr_kernarg_segment_ptr 1
		.amdhsa_user_sgpr_dispatch_id 0
		.amdhsa_user_sgpr_private_segment_size 0
		.amdhsa_wavefront_size32 1
		.amdhsa_uses_dynamic_stack 0
		.amdhsa_enable_private_segment 0
		.amdhsa_system_sgpr_workgroup_id_x 1
		.amdhsa_system_sgpr_workgroup_id_y 0
		.amdhsa_system_sgpr_workgroup_id_z 0
		.amdhsa_system_sgpr_workgroup_info 0
		.amdhsa_system_vgpr_workitem_id 0
		.amdhsa_next_free_vgpr 235
		.amdhsa_next_free_sgpr 56
		.amdhsa_reserve_vcc 1
		.amdhsa_float_round_mode_32 0
		.amdhsa_float_round_mode_16_64 0
		.amdhsa_float_denorm_mode_32 3
		.amdhsa_float_denorm_mode_16_64 3
		.amdhsa_fp16_overflow 0
		.amdhsa_workgroup_processor_mode 1
		.amdhsa_memory_ordered 1
		.amdhsa_forward_progress 0
		.amdhsa_round_robin_scheduling 0
		.amdhsa_exception_fp_ieee_invalid_op 0
		.amdhsa_exception_fp_denorm_src 0
		.amdhsa_exception_fp_ieee_div_zero 0
		.amdhsa_exception_fp_ieee_overflow 0
		.amdhsa_exception_fp_ieee_underflow 0
		.amdhsa_exception_fp_ieee_inexact 0
		.amdhsa_exception_int_div_zero 0
	.end_amdhsa_kernel
	.text
.Lfunc_end0:
	.size	fft_rtc_back_len1326_factors_17_6_13_wgs_204_tpt_102_halfLds_dp_ip_CI_unitstride_sbrr_dirReg, .Lfunc_end0-fft_rtc_back_len1326_factors_17_6_13_wgs_204_tpt_102_halfLds_dp_ip_CI_unitstride_sbrr_dirReg
                                        ; -- End function
	.section	.AMDGPU.csdata,"",@progbits
; Kernel info:
; codeLenInByte = 13116
; NumSgprs: 58
; NumVgprs: 235
; ScratchSize: 0
; MemoryBound: 1
; FloatMode: 240
; IeeeMode: 1
; LDSByteSize: 0 bytes/workgroup (compile time only)
; SGPRBlocks: 7
; VGPRBlocks: 29
; NumSGPRsForWavesPerEU: 58
; NumVGPRsForWavesPerEU: 235
; Occupancy: 6
; WaveLimiterHint : 1
; COMPUTE_PGM_RSRC2:SCRATCH_EN: 0
; COMPUTE_PGM_RSRC2:USER_SGPR: 2
; COMPUTE_PGM_RSRC2:TRAP_HANDLER: 0
; COMPUTE_PGM_RSRC2:TGID_X_EN: 1
; COMPUTE_PGM_RSRC2:TGID_Y_EN: 0
; COMPUTE_PGM_RSRC2:TGID_Z_EN: 0
; COMPUTE_PGM_RSRC2:TIDIG_COMP_CNT: 0
	.text
	.p2alignl 7, 3214868480
	.fill 96, 4, 3214868480
	.type	__hip_cuid_9d9dd5390cf581b4,@object ; @__hip_cuid_9d9dd5390cf581b4
	.section	.bss,"aw",@nobits
	.globl	__hip_cuid_9d9dd5390cf581b4
__hip_cuid_9d9dd5390cf581b4:
	.byte	0                               ; 0x0
	.size	__hip_cuid_9d9dd5390cf581b4, 1

	.ident	"AMD clang version 19.0.0git (https://github.com/RadeonOpenCompute/llvm-project roc-6.4.0 25133 c7fe45cf4b819c5991fe208aaa96edf142730f1d)"
	.section	".note.GNU-stack","",@progbits
	.addrsig
	.addrsig_sym __hip_cuid_9d9dd5390cf581b4
	.amdgpu_metadata
---
amdhsa.kernels:
  - .args:
      - .actual_access:  read_only
        .address_space:  global
        .offset:         0
        .size:           8
        .value_kind:     global_buffer
      - .offset:         8
        .size:           8
        .value_kind:     by_value
      - .actual_access:  read_only
        .address_space:  global
        .offset:         16
        .size:           8
        .value_kind:     global_buffer
      - .actual_access:  read_only
        .address_space:  global
        .offset:         24
        .size:           8
        .value_kind:     global_buffer
      - .offset:         32
        .size:           8
        .value_kind:     by_value
      - .actual_access:  read_only
        .address_space:  global
        .offset:         40
        .size:           8
        .value_kind:     global_buffer
      - .actual_access:  read_only
        .address_space:  global
        .offset:         48
        .size:           8
        .value_kind:     global_buffer
      - .offset:         56
        .size:           4
        .value_kind:     by_value
      - .actual_access:  read_only
        .address_space:  global
        .offset:         64
        .size:           8
        .value_kind:     global_buffer
      - .actual_access:  read_only
        .address_space:  global
        .offset:         72
        .size:           8
        .value_kind:     global_buffer
      - .address_space:  global
        .offset:         80
        .size:           8
        .value_kind:     global_buffer
    .group_segment_fixed_size: 0
    .kernarg_segment_align: 8
    .kernarg_segment_size: 88
    .language:       OpenCL C
    .language_version:
      - 2
      - 0
    .max_flat_workgroup_size: 204
    .name:           fft_rtc_back_len1326_factors_17_6_13_wgs_204_tpt_102_halfLds_dp_ip_CI_unitstride_sbrr_dirReg
    .private_segment_fixed_size: 0
    .sgpr_count:     58
    .sgpr_spill_count: 0
    .symbol:         fft_rtc_back_len1326_factors_17_6_13_wgs_204_tpt_102_halfLds_dp_ip_CI_unitstride_sbrr_dirReg.kd
    .uniform_work_group_size: 1
    .uses_dynamic_stack: false
    .vgpr_count:     235
    .vgpr_spill_count: 0
    .wavefront_size: 32
    .workgroup_processor_mode: 1
amdhsa.target:   amdgcn-amd-amdhsa--gfx1201
amdhsa.version:
  - 1
  - 2
...

	.end_amdgpu_metadata
